;; amdgpu-corpus repo=ROCm/rocSPARSE kind=compiled arch=gfx1100 opt=O3
	.text
	.amdgcn_target "amdgcn-amd-amdhsa--gfx1100"
	.amdhsa_code_object_version 6
	.section	.text._ZN9rocsparseL14csr2ell_kernelILj512EiiiEEvT2_PKT0_PKT1_PKS1_21rocsparse_index_base_S1_PS1_PS2_SA_,"axG",@progbits,_ZN9rocsparseL14csr2ell_kernelILj512EiiiEEvT2_PKT0_PKT1_PKS1_21rocsparse_index_base_S1_PS1_PS2_SA_,comdat
	.globl	_ZN9rocsparseL14csr2ell_kernelILj512EiiiEEvT2_PKT0_PKT1_PKS1_21rocsparse_index_base_S1_PS1_PS2_SA_ ; -- Begin function _ZN9rocsparseL14csr2ell_kernelILj512EiiiEEvT2_PKT0_PKT1_PKS1_21rocsparse_index_base_S1_PS1_PS2_SA_
	.p2align	8
	.type	_ZN9rocsparseL14csr2ell_kernelILj512EiiiEEvT2_PKT0_PKT1_PKS1_21rocsparse_index_base_S1_PS1_PS2_SA_,@function
_ZN9rocsparseL14csr2ell_kernelILj512EiiiEEvT2_PKT0_PKT1_PKS1_21rocsparse_index_base_S1_PS1_PS2_SA_: ; @_ZN9rocsparseL14csr2ell_kernelILj512EiiiEEvT2_PKT0_PKT1_PKS1_21rocsparse_index_base_S1_PS1_PS2_SA_
; %bb.0:
	s_load_b32 s12, s[0:1], 0x0
	s_lshl_b32 s13, s15, 9
	s_mov_b32 s2, exec_lo
	v_or_b32_e32 v1, s13, v0
	s_waitcnt lgkmcnt(0)
	s_delay_alu instid0(VALU_DEP_1)
	v_cmpx_gt_i32_e64 s12, v1
	s_cbranch_execz .LBB0_7
; %bb.1:
	s_clause 0x1
	s_load_b128 s[8:11], s[0:1], 0x8
	s_load_b64 s[2:3], s[0:1], 0x20
	v_ashrrev_i32_e32 v2, 31, v1
	s_load_b128 s[4:7], s[0:1], 0x28
	s_delay_alu instid0(VALU_DEP_1) | instskip(SKIP_1) | instid1(VALU_DEP_1)
	v_lshlrev_b64 v[2:3], 2, v[1:2]
	s_waitcnt lgkmcnt(0)
	v_add_co_u32 v2, vcc_lo, s10, v2
	s_delay_alu instid0(VALU_DEP_2)
	v_add_co_ci_u32_e32 v3, vcc_lo, s11, v3, vcc_lo
	s_cmp_gt_i32 s3, 0
	s_mov_b32 s10, 0
	s_cselect_b32 s11, -1, 0
	global_load_b64 v[4:5], v[2:3], off
	s_waitcnt vmcnt(0)
	v_cmp_lt_i32_e32 vcc_lo, v4, v5
	v_subrev_nc_u32_e32 v3, s2, v4
	v_subrev_nc_u32_e32 v8, s2, v5
	s_and_b32 s14, s11, vcc_lo
	s_delay_alu instid0(SALU_CYCLE_1)
	s_and_saveexec_b32 s11, s14
	s_cbranch_execz .LBB0_4
; %bb.2:
	s_clause 0x1
	s_load_b64 s[14:15], s[0:1], 0x18
	s_load_b32 s0, s[0:1], 0x38
	v_ashrrev_i32_e32 v4, 31, v3
	s_mov_b32 s1, 1
	s_delay_alu instid0(VALU_DEP_1) | instskip(SKIP_1) | instid1(VALU_DEP_1)
	v_lshlrev_b64 v[6:7], 2, v[3:4]
	s_waitcnt lgkmcnt(0)
	v_add_co_u32 v4, vcc_lo, s14, v6
	s_delay_alu instid0(VALU_DEP_2)
	v_add_co_ci_u32_e32 v5, vcc_lo, s15, v7, vcc_lo
	v_add_co_u32 v6, vcc_lo, s8, v6
	v_add_co_ci_u32_e32 v7, vcc_lo, s9, v7, vcc_lo
	s_sub_i32 s0, s0, s2
	s_set_inst_prefetch_distance 0x1
	.p2align	6
.LBB0_3:                                ; =>This Inner Loop Header: Depth=1
	global_load_b32 v13, v[4:5], off
	v_ashrrev_i32_e32 v2, 31, v1
	s_cmp_ge_i32 s1, s3
	s_cselect_b32 s2, -1, 0
	s_delay_alu instid0(VALU_DEP_1) | instskip(SKIP_1) | instid1(VALU_DEP_2)
	v_lshlrev_b64 v[9:10], 2, v[1:2]
	v_add_nc_u32_e32 v1, s12, v1
	v_add_co_u32 v11, vcc_lo, s4, v9
	s_delay_alu instid0(VALU_DEP_3)
	v_add_co_ci_u32_e32 v12, vcc_lo, s5, v10, vcc_lo
	v_add_co_u32 v4, vcc_lo, v4, 4
	v_add_co_ci_u32_e32 v5, vcc_lo, 0, v5, vcc_lo
	s_waitcnt vmcnt(0)
	v_add_nc_u32_e32 v2, s0, v13
	global_store_b32 v[11:12], v2, off
	global_load_b32 v2, v[6:7], off
	v_add_nc_u32_e32 v11, s1, v3
	s_add_i32 s1, s1, 1
	s_delay_alu instid0(VALU_DEP_1)
	v_cmp_ge_i32_e32 vcc_lo, v11, v8
	s_or_b32 s2, vcc_lo, s2
	v_add_co_u32 v9, vcc_lo, s6, v9
	v_add_co_ci_u32_e32 v10, vcc_lo, s7, v10, vcc_lo
	v_add_co_u32 v6, vcc_lo, v6, 4
	v_add_co_ci_u32_e32 v7, vcc_lo, 0, v7, vcc_lo
	s_and_b32 s2, exec_lo, s2
	s_delay_alu instid0(SALU_CYCLE_1)
	s_or_b32 s10, s2, s10
	s_waitcnt vmcnt(0)
	global_store_b32 v[9:10], v2, off
	s_and_not1_b32 exec_lo, exec_lo, s10
	s_cbranch_execnz .LBB0_3
.LBB0_4:
	s_set_inst_prefetch_distance 0x2
	s_or_b32 exec_lo, exec_lo, s11
	v_sub_nc_u32_e32 v2, v8, v3
	s_delay_alu instid0(VALU_DEP_1)
	v_cmp_gt_i32_e32 vcc_lo, s3, v2
	s_and_b32 exec_lo, exec_lo, vcc_lo
	s_cbranch_execz .LBB0_7
; %bb.5:
	v_mul_lo_u32 v1, s12, v2
	v_dual_mov_b32 v3, -1 :: v_dual_mov_b32 v4, 0
	s_mov_b32 s1, 0
	s_delay_alu instid0(VALU_DEP_2)
	v_add3_u32 v0, v0, v1, s13
	.p2align	6
.LBB0_6:                                ; =>This Inner Loop Header: Depth=1
	s_delay_alu instid0(VALU_DEP_1) | instskip(SKIP_1) | instid1(VALU_DEP_2)
	v_ashrrev_i32_e32 v1, 31, v0
	v_add_nc_u32_e32 v2, 1, v2
	v_lshlrev_b64 v[5:6], 2, v[0:1]
	s_delay_alu instid0(VALU_DEP_2) | instskip(SKIP_2) | instid1(VALU_DEP_3)
	v_cmp_le_i32_e32 vcc_lo, s3, v2
	v_add_nc_u32_e32 v0, s12, v0
	s_or_b32 s1, vcc_lo, s1
	v_add_co_u32 v7, s0, s4, v5
	s_delay_alu instid0(VALU_DEP_1) | instskip(SKIP_1) | instid1(VALU_DEP_1)
	v_add_co_ci_u32_e64 v8, s0, s5, v6, s0
	v_add_co_u32 v5, s0, s6, v5
	v_add_co_ci_u32_e64 v6, s0, s7, v6, s0
	global_store_b32 v[7:8], v3, off
	global_store_b32 v[5:6], v4, off
	s_and_not1_b32 exec_lo, exec_lo, s1
	s_cbranch_execnz .LBB0_6
.LBB0_7:
	s_nop 0
	s_sendmsg sendmsg(MSG_DEALLOC_VGPRS)
	s_endpgm
	.section	.rodata,"a",@progbits
	.p2align	6, 0x0
	.amdhsa_kernel _ZN9rocsparseL14csr2ell_kernelILj512EiiiEEvT2_PKT0_PKT1_PKS1_21rocsparse_index_base_S1_PS1_PS2_SA_
		.amdhsa_group_segment_fixed_size 0
		.amdhsa_private_segment_fixed_size 0
		.amdhsa_kernarg_size 60
		.amdhsa_user_sgpr_count 15
		.amdhsa_user_sgpr_dispatch_ptr 0
		.amdhsa_user_sgpr_queue_ptr 0
		.amdhsa_user_sgpr_kernarg_segment_ptr 1
		.amdhsa_user_sgpr_dispatch_id 0
		.amdhsa_user_sgpr_private_segment_size 0
		.amdhsa_wavefront_size32 1
		.amdhsa_uses_dynamic_stack 0
		.amdhsa_enable_private_segment 0
		.amdhsa_system_sgpr_workgroup_id_x 1
		.amdhsa_system_sgpr_workgroup_id_y 0
		.amdhsa_system_sgpr_workgroup_id_z 0
		.amdhsa_system_sgpr_workgroup_info 0
		.amdhsa_system_vgpr_workitem_id 0
		.amdhsa_next_free_vgpr 14
		.amdhsa_next_free_sgpr 16
		.amdhsa_reserve_vcc 1
		.amdhsa_float_round_mode_32 0
		.amdhsa_float_round_mode_16_64 0
		.amdhsa_float_denorm_mode_32 3
		.amdhsa_float_denorm_mode_16_64 3
		.amdhsa_dx10_clamp 1
		.amdhsa_ieee_mode 1
		.amdhsa_fp16_overflow 0
		.amdhsa_workgroup_processor_mode 1
		.amdhsa_memory_ordered 1
		.amdhsa_forward_progress 0
		.amdhsa_shared_vgpr_count 0
		.amdhsa_exception_fp_ieee_invalid_op 0
		.amdhsa_exception_fp_denorm_src 0
		.amdhsa_exception_fp_ieee_div_zero 0
		.amdhsa_exception_fp_ieee_overflow 0
		.amdhsa_exception_fp_ieee_underflow 0
		.amdhsa_exception_fp_ieee_inexact 0
		.amdhsa_exception_int_div_zero 0
	.end_amdhsa_kernel
	.section	.text._ZN9rocsparseL14csr2ell_kernelILj512EiiiEEvT2_PKT0_PKT1_PKS1_21rocsparse_index_base_S1_PS1_PS2_SA_,"axG",@progbits,_ZN9rocsparseL14csr2ell_kernelILj512EiiiEEvT2_PKT0_PKT1_PKS1_21rocsparse_index_base_S1_PS1_PS2_SA_,comdat
.Lfunc_end0:
	.size	_ZN9rocsparseL14csr2ell_kernelILj512EiiiEEvT2_PKT0_PKT1_PKS1_21rocsparse_index_base_S1_PS1_PS2_SA_, .Lfunc_end0-_ZN9rocsparseL14csr2ell_kernelILj512EiiiEEvT2_PKT0_PKT1_PKS1_21rocsparse_index_base_S1_PS1_PS2_SA_
                                        ; -- End function
	.section	.AMDGPU.csdata,"",@progbits
; Kernel info:
; codeLenInByte = 568
; NumSgprs: 18
; NumVgprs: 14
; ScratchSize: 0
; MemoryBound: 0
; FloatMode: 240
; IeeeMode: 1
; LDSByteSize: 0 bytes/workgroup (compile time only)
; SGPRBlocks: 2
; VGPRBlocks: 1
; NumSGPRsForWavesPerEU: 18
; NumVGPRsForWavesPerEU: 14
; Occupancy: 16
; WaveLimiterHint : 0
; COMPUTE_PGM_RSRC2:SCRATCH_EN: 0
; COMPUTE_PGM_RSRC2:USER_SGPR: 15
; COMPUTE_PGM_RSRC2:TRAP_HANDLER: 0
; COMPUTE_PGM_RSRC2:TGID_X_EN: 1
; COMPUTE_PGM_RSRC2:TGID_Y_EN: 0
; COMPUTE_PGM_RSRC2:TGID_Z_EN: 0
; COMPUTE_PGM_RSRC2:TIDIG_COMP_CNT: 0
	.section	.text._ZN9rocsparseL14csr2ell_kernelILj512EiliEEvT2_PKT0_PKT1_PKS1_21rocsparse_index_base_S1_PS1_PS2_SA_,"axG",@progbits,_ZN9rocsparseL14csr2ell_kernelILj512EiliEEvT2_PKT0_PKT1_PKS1_21rocsparse_index_base_S1_PS1_PS2_SA_,comdat
	.globl	_ZN9rocsparseL14csr2ell_kernelILj512EiliEEvT2_PKT0_PKT1_PKS1_21rocsparse_index_base_S1_PS1_PS2_SA_ ; -- Begin function _ZN9rocsparseL14csr2ell_kernelILj512EiliEEvT2_PKT0_PKT1_PKS1_21rocsparse_index_base_S1_PS1_PS2_SA_
	.p2align	8
	.type	_ZN9rocsparseL14csr2ell_kernelILj512EiliEEvT2_PKT0_PKT1_PKS1_21rocsparse_index_base_S1_PS1_PS2_SA_,@function
_ZN9rocsparseL14csr2ell_kernelILj512EiliEEvT2_PKT0_PKT1_PKS1_21rocsparse_index_base_S1_PS1_PS2_SA_: ; @_ZN9rocsparseL14csr2ell_kernelILj512EiliEEvT2_PKT0_PKT1_PKS1_21rocsparse_index_base_S1_PS1_PS2_SA_
; %bb.0:
	s_load_b32 s14, s[0:1], 0x0
	s_lshl_b32 s15, s15, 9
	s_mov_b32 s2, exec_lo
	v_or_b32_e32 v5, s15, v0
	s_waitcnt lgkmcnt(0)
	s_delay_alu instid0(VALU_DEP_1)
	v_cmpx_gt_i32_e64 s14, v5
	s_cbranch_execz .LBB1_7
; %bb.1:
	s_clause 0x1
	s_load_b128 s[8:11], s[0:1], 0x8
	s_load_b64 s[2:3], s[0:1], 0x20
	v_ashrrev_i32_e32 v6, 31, v5
	s_load_b128 s[4:7], s[0:1], 0x28
	s_mov_b32 s16, 0
	s_delay_alu instid0(VALU_DEP_1) | instskip(SKIP_1) | instid1(VALU_DEP_1)
	v_lshlrev_b64 v[1:2], 3, v[5:6]
	s_waitcnt lgkmcnt(0)
	v_add_co_u32 v1, vcc_lo, s10, v1
	s_delay_alu instid0(VALU_DEP_2)
	v_add_co_ci_u32_e32 v2, vcc_lo, s11, v2, vcc_lo
	s_cmp_gt_i32 s3, 0
	s_cselect_b32 s10, -1, 0
	global_load_b128 v[1:4], v[1:2], off
	s_waitcnt vmcnt(0)
	v_sub_co_u32 v2, null, v1, s2
	v_sub_co_u32 v7, vcc_lo, v3, s2
	v_subrev_co_ci_u32_e32 v8, vcc_lo, 0, v4, vcc_lo
	s_delay_alu instid0(VALU_DEP_3) | instskip(NEXT) | instid1(VALU_DEP_1)
	v_ashrrev_i32_e32 v3, 31, v2
	v_cmp_gt_i64_e32 vcc_lo, v[7:8], v[2:3]
	s_and_b32 s10, s10, vcc_lo
	s_delay_alu instid0(SALU_CYCLE_1)
	s_and_saveexec_b32 s17, s10
	s_cbranch_execz .LBB1_4
; %bb.2:
	s_clause 0x1
	s_load_b32 s12, s[0:1], 0x38
	s_load_b64 s[10:11], s[0:1], 0x18
	v_subrev_nc_u32_e32 v1, s2, v1
	v_mov_b32_e32 v10, v2
	v_mov_b32_e32 v4, v3
	v_mov_b32_e32 v3, v2
	s_delay_alu instid0(VALU_DEP_4) | instskip(NEXT) | instid1(VALU_DEP_1)
	v_add_nc_u32_e32 v1, 1, v1
	v_ashrrev_i32_e32 v9, 31, v1
	s_waitcnt lgkmcnt(0)
	s_sub_i32 s1, s12, s2
	s_mov_b64 s[12:13], 0
	s_set_inst_prefetch_distance 0x1
	.p2align	6
.LBB1_3:                                ; =>This Inner Loop Header: Depth=1
	v_lshlrev_b64 v[3:4], 2, v[3:4]
	v_ashrrev_i32_e32 v6, 31, v5
	s_add_u32 s18, s12, 1
	s_addc_u32 s19, s13, 0
	s_cmp_ge_i32 s18, s3
	s_delay_alu instid0(VALU_DEP_2)
	v_add_co_u32 v11, vcc_lo, s10, v3
	v_add_co_ci_u32_e32 v12, vcc_lo, s11, v4, vcc_lo
	v_add_co_u32 v3, vcc_lo, s8, v3
	v_add_co_ci_u32_e32 v4, vcc_lo, s9, v4, vcc_lo
	global_load_b32 v15, v[11:12], off
	v_lshlrev_b64 v[11:12], 2, v[5:6]
	s_delay_alu instid0(VALU_DEP_1) | instskip(NEXT) | instid1(VALU_DEP_1)
	v_add_co_u32 v13, s0, s4, v11
	v_add_co_ci_u32_e64 v14, s0, s5, v12, s0
	s_cselect_b32 s0, -1, 0
	s_waitcnt vmcnt(0)
	v_add_nc_u32_e32 v6, s1, v15
	global_store_b32 v[13:14], v6, off
	global_load_b32 v6, v[3:4], off
	v_add_co_u32 v13, vcc_lo, v1, s12
	v_add_co_ci_u32_e32 v14, vcc_lo, s13, v9, vcc_lo
	v_add_nc_u32_e32 v3, 1, v10
	v_add_nc_u32_e32 v5, s14, v5
	s_mov_b64 s[12:13], s[18:19]
	s_delay_alu instid0(VALU_DEP_3) | instskip(NEXT) | instid1(VALU_DEP_3)
	v_cmp_le_i64_e32 vcc_lo, v[7:8], v[13:14]
	v_mov_b32_e32 v10, v3
	v_ashrrev_i32_e32 v4, 31, v3
	s_or_b32 s0, vcc_lo, s0
	v_add_co_u32 v11, vcc_lo, s6, v11
	v_add_co_ci_u32_e32 v12, vcc_lo, s7, v12, vcc_lo
	s_and_b32 s0, exec_lo, s0
	s_delay_alu instid0(SALU_CYCLE_1)
	s_or_b32 s16, s0, s16
	s_waitcnt vmcnt(0)
	global_store_b32 v[11:12], v6, off
	s_and_not1_b32 exec_lo, exec_lo, s16
	s_cbranch_execnz .LBB1_3
.LBB1_4:
	s_set_inst_prefetch_distance 0x2
	s_or_b32 exec_lo, exec_lo, s17
	v_sub_nc_u32_e32 v2, v7, v2
	s_delay_alu instid0(VALU_DEP_1)
	v_cmp_gt_i32_e32 vcc_lo, s3, v2
	s_and_b32 exec_lo, exec_lo, vcc_lo
	s_cbranch_execz .LBB1_7
; %bb.5:
	v_mul_lo_u32 v1, s14, v2
	v_dual_mov_b32 v3, -1 :: v_dual_mov_b32 v4, 0
	s_mov_b32 s1, 0
	s_delay_alu instid0(VALU_DEP_2)
	v_add3_u32 v0, v0, v1, s15
	.p2align	6
.LBB1_6:                                ; =>This Inner Loop Header: Depth=1
	s_delay_alu instid0(VALU_DEP_1) | instskip(SKIP_1) | instid1(VALU_DEP_2)
	v_ashrrev_i32_e32 v1, 31, v0
	v_add_nc_u32_e32 v2, 1, v2
	v_lshlrev_b64 v[5:6], 2, v[0:1]
	s_delay_alu instid0(VALU_DEP_2) | instskip(SKIP_2) | instid1(VALU_DEP_3)
	v_cmp_le_i32_e32 vcc_lo, s3, v2
	v_add_nc_u32_e32 v0, s14, v0
	s_or_b32 s1, vcc_lo, s1
	v_add_co_u32 v7, s0, s4, v5
	s_delay_alu instid0(VALU_DEP_1) | instskip(SKIP_1) | instid1(VALU_DEP_1)
	v_add_co_ci_u32_e64 v8, s0, s5, v6, s0
	v_add_co_u32 v5, s0, s6, v5
	v_add_co_ci_u32_e64 v6, s0, s7, v6, s0
	global_store_b32 v[7:8], v3, off
	global_store_b32 v[5:6], v4, off
	s_and_not1_b32 exec_lo, exec_lo, s1
	s_cbranch_execnz .LBB1_6
.LBB1_7:
	s_nop 0
	s_sendmsg sendmsg(MSG_DEALLOC_VGPRS)
	s_endpgm
	.section	.rodata,"a",@progbits
	.p2align	6, 0x0
	.amdhsa_kernel _ZN9rocsparseL14csr2ell_kernelILj512EiliEEvT2_PKT0_PKT1_PKS1_21rocsparse_index_base_S1_PS1_PS2_SA_
		.amdhsa_group_segment_fixed_size 0
		.amdhsa_private_segment_fixed_size 0
		.amdhsa_kernarg_size 60
		.amdhsa_user_sgpr_count 15
		.amdhsa_user_sgpr_dispatch_ptr 0
		.amdhsa_user_sgpr_queue_ptr 0
		.amdhsa_user_sgpr_kernarg_segment_ptr 1
		.amdhsa_user_sgpr_dispatch_id 0
		.amdhsa_user_sgpr_private_segment_size 0
		.amdhsa_wavefront_size32 1
		.amdhsa_uses_dynamic_stack 0
		.amdhsa_enable_private_segment 0
		.amdhsa_system_sgpr_workgroup_id_x 1
		.amdhsa_system_sgpr_workgroup_id_y 0
		.amdhsa_system_sgpr_workgroup_id_z 0
		.amdhsa_system_sgpr_workgroup_info 0
		.amdhsa_system_vgpr_workitem_id 0
		.amdhsa_next_free_vgpr 16
		.amdhsa_next_free_sgpr 20
		.amdhsa_reserve_vcc 1
		.amdhsa_float_round_mode_32 0
		.amdhsa_float_round_mode_16_64 0
		.amdhsa_float_denorm_mode_32 3
		.amdhsa_float_denorm_mode_16_64 3
		.amdhsa_dx10_clamp 1
		.amdhsa_ieee_mode 1
		.amdhsa_fp16_overflow 0
		.amdhsa_workgroup_processor_mode 1
		.amdhsa_memory_ordered 1
		.amdhsa_forward_progress 0
		.amdhsa_shared_vgpr_count 0
		.amdhsa_exception_fp_ieee_invalid_op 0
		.amdhsa_exception_fp_denorm_src 0
		.amdhsa_exception_fp_ieee_div_zero 0
		.amdhsa_exception_fp_ieee_overflow 0
		.amdhsa_exception_fp_ieee_underflow 0
		.amdhsa_exception_fp_ieee_inexact 0
		.amdhsa_exception_int_div_zero 0
	.end_amdhsa_kernel
	.section	.text._ZN9rocsparseL14csr2ell_kernelILj512EiliEEvT2_PKT0_PKT1_PKS1_21rocsparse_index_base_S1_PS1_PS2_SA_,"axG",@progbits,_ZN9rocsparseL14csr2ell_kernelILj512EiliEEvT2_PKT0_PKT1_PKS1_21rocsparse_index_base_S1_PS1_PS2_SA_,comdat
.Lfunc_end1:
	.size	_ZN9rocsparseL14csr2ell_kernelILj512EiliEEvT2_PKT0_PKT1_PKS1_21rocsparse_index_base_S1_PS1_PS2_SA_, .Lfunc_end1-_ZN9rocsparseL14csr2ell_kernelILj512EiliEEvT2_PKT0_PKT1_PKS1_21rocsparse_index_base_S1_PS1_PS2_SA_
                                        ; -- End function
	.section	.AMDGPU.csdata,"",@progbits
; Kernel info:
; codeLenInByte = 612
; NumSgprs: 22
; NumVgprs: 16
; ScratchSize: 0
; MemoryBound: 0
; FloatMode: 240
; IeeeMode: 1
; LDSByteSize: 0 bytes/workgroup (compile time only)
; SGPRBlocks: 2
; VGPRBlocks: 1
; NumSGPRsForWavesPerEU: 22
; NumVGPRsForWavesPerEU: 16
; Occupancy: 16
; WaveLimiterHint : 0
; COMPUTE_PGM_RSRC2:SCRATCH_EN: 0
; COMPUTE_PGM_RSRC2:USER_SGPR: 15
; COMPUTE_PGM_RSRC2:TRAP_HANDLER: 0
; COMPUTE_PGM_RSRC2:TGID_X_EN: 1
; COMPUTE_PGM_RSRC2:TGID_Y_EN: 0
; COMPUTE_PGM_RSRC2:TGID_Z_EN: 0
; COMPUTE_PGM_RSRC2:TIDIG_COMP_CNT: 0
	.section	.text._ZN9rocsparseL14csr2ell_kernelILj512EiilEEvT2_PKT0_PKT1_PKS1_21rocsparse_index_base_S1_PS1_PS2_SA_,"axG",@progbits,_ZN9rocsparseL14csr2ell_kernelILj512EiilEEvT2_PKT0_PKT1_PKS1_21rocsparse_index_base_S1_PS1_PS2_SA_,comdat
	.globl	_ZN9rocsparseL14csr2ell_kernelILj512EiilEEvT2_PKT0_PKT1_PKS1_21rocsparse_index_base_S1_PS1_PS2_SA_ ; -- Begin function _ZN9rocsparseL14csr2ell_kernelILj512EiilEEvT2_PKT0_PKT1_PKS1_21rocsparse_index_base_S1_PS1_PS2_SA_
	.p2align	8
	.type	_ZN9rocsparseL14csr2ell_kernelILj512EiilEEvT2_PKT0_PKT1_PKS1_21rocsparse_index_base_S1_PS1_PS2_SA_,@function
_ZN9rocsparseL14csr2ell_kernelILj512EiilEEvT2_PKT0_PKT1_PKS1_21rocsparse_index_base_S1_PS1_PS2_SA_: ; @_ZN9rocsparseL14csr2ell_kernelILj512EiilEEvT2_PKT0_PKT1_PKS1_21rocsparse_index_base_S1_PS1_PS2_SA_
; %bb.0:
	s_load_b256 s[4:11], s[0:1], 0x0
	s_lshl_b32 s16, s15, 9
	v_mov_b32_e32 v2, 0
	v_or_b32_e32 v1, s16, v0
	s_mov_b32 s2, exec_lo
	s_waitcnt lgkmcnt(0)
	s_delay_alu instid0(VALU_DEP_1)
	v_cmpx_gt_i64_e64 s[4:5], v[1:2]
	s_cbranch_execz .LBB2_7
; %bb.1:
	v_lshlrev_b64 v[2:3], 2, v[1:2]
	s_delay_alu instid0(VALU_DEP_1) | instskip(NEXT) | instid1(VALU_DEP_2)
	v_add_co_u32 v2, vcc_lo, s8, v2
	v_add_co_ci_u32_e32 v3, vcc_lo, s9, v3, vcc_lo
	global_load_b64 v[3:4], v[2:3], off
	s_clause 0x2
	s_load_b128 s[12:15], s[0:1], 0x28
	s_load_b32 s9, s[0:1], 0x20
	s_load_b64 s[2:3], s[0:1], 0x38
	s_waitcnt lgkmcnt(0)
	v_cmp_gt_i64_e64 s5, s[12:13], 0
	s_waitcnt vmcnt(0)
	v_cmp_lt_i32_e32 vcc_lo, v3, v4
	v_subrev_nc_u32_e32 v3, s9, v3
	v_subrev_nc_u32_e32 v8, s9, v4
	s_delay_alu instid0(VALU_DEP_4) | instskip(NEXT) | instid1(SALU_CYCLE_1)
	s_and_b32 s8, s5, vcc_lo
	s_and_saveexec_b32 s5, s8
	s_cbranch_execz .LBB2_4
; %bb.2:
	s_load_b32 s0, s[0:1], 0x40
	v_ashrrev_i32_e32 v4, 31, v3
	s_mov_b32 s8, 0
	s_delay_alu instid0(VALU_DEP_1) | instskip(SKIP_1) | instid1(VALU_DEP_2)
	v_lshlrev_b64 v[5:6], 3, v[3:4]
	v_lshlrev_b64 v[9:10], 2, v[3:4]
	v_add_co_u32 v4, vcc_lo, s10, v5
	s_delay_alu instid0(VALU_DEP_3) | instskip(NEXT) | instid1(VALU_DEP_3)
	v_add_co_ci_u32_e32 v5, vcc_lo, s11, v6, vcc_lo
	v_add_co_u32 v6, vcc_lo, s6, v9
	s_delay_alu instid0(VALU_DEP_4)
	v_add_co_ci_u32_e32 v7, vcc_lo, s7, v10, vcc_lo
	s_waitcnt lgkmcnt(0)
	s_sub_u32 s6, s0, s9
	s_subb_u32 s7, 0, 0
	s_mov_b64 s[0:1], 1
	s_set_inst_prefetch_distance 0x1
	.p2align	6
.LBB2_3:                                ; =>This Inner Loop Header: Depth=1
	global_load_b64 v[9:10], v[4:5], off
	global_load_b32 v15, v[6:7], off
	v_add_co_u32 v4, vcc_lo, v4, 8
	v_ashrrev_i32_e32 v2, 31, v1
	v_add_nc_u32_e32 v11, s0, v3
	v_add_co_ci_u32_e32 v5, vcc_lo, 0, v5, vcc_lo
	v_add_co_u32 v6, vcc_lo, v6, 4
	v_add_co_ci_u32_e32 v7, vcc_lo, 0, v7, vcc_lo
	v_cmp_ge_i64_e64 s9, s[0:1], s[12:13]
	v_cmp_ge_i32_e32 vcc_lo, v11, v8
	v_lshlrev_b64 v[11:12], 3, v[1:2]
	v_lshlrev_b64 v[13:14], 2, v[1:2]
	v_add_nc_u32_e32 v1, s4, v1
	s_or_b32 s9, vcc_lo, s9
	s_add_u32 s0, s0, 1
	s_delay_alu instid0(VALU_DEP_3)
	v_add_co_u32 v11, vcc_lo, s14, v11
	v_add_co_ci_u32_e32 v12, vcc_lo, s15, v12, vcc_lo
	v_add_co_u32 v13, vcc_lo, s2, v13
	v_add_co_ci_u32_e32 v14, vcc_lo, s3, v14, vcc_lo
	s_addc_u32 s1, s1, 0
	s_and_b32 s9, exec_lo, s9
	s_delay_alu instid0(SALU_CYCLE_1)
	s_or_b32 s8, s9, s8
	s_waitcnt vmcnt(1)
	v_add_co_u32 v9, vcc_lo, s6, v9
	v_add_co_ci_u32_e32 v10, vcc_lo, s7, v10, vcc_lo
	s_waitcnt vmcnt(0)
	global_store_b32 v[13:14], v15, off
	global_store_b64 v[11:12], v[9:10], off
	s_and_not1_b32 exec_lo, exec_lo, s8
	s_cbranch_execnz .LBB2_3
.LBB2_4:
	s_set_inst_prefetch_distance 0x2
	s_or_b32 exec_lo, exec_lo, s5
	v_sub_nc_u32_e32 v1, v8, v3
	s_delay_alu instid0(VALU_DEP_1) | instskip(NEXT) | instid1(VALU_DEP_1)
	v_ashrrev_i32_e32 v2, 31, v1
	v_cmp_gt_i64_e32 vcc_lo, s[12:13], v[1:2]
	s_and_b32 exec_lo, exec_lo, vcc_lo
	s_cbranch_execz .LBB2_7
; %bb.5:
	v_mul_lo_u32 v5, v1, s4
	v_mov_b32_e32 v3, -1
	s_mov_b32 s1, 0
	s_delay_alu instid0(VALU_DEP_2) | instskip(SKIP_1) | instid1(VALU_DEP_3)
	v_add3_u32 v5, v0, v5, s16
	v_mov_b32_e32 v0, 0
	v_mov_b32_e32 v4, v3
	.p2align	6
.LBB2_6:                                ; =>This Inner Loop Header: Depth=1
	s_delay_alu instid0(VALU_DEP_3) | instskip(SKIP_2) | instid1(VALU_DEP_3)
	v_ashrrev_i32_e32 v6, 31, v5
	v_add_co_u32 v1, vcc_lo, v1, 1
	v_add_co_ci_u32_e32 v2, vcc_lo, 0, v2, vcc_lo
	v_lshlrev_b64 v[7:8], 3, v[5:6]
	v_lshlrev_b64 v[9:10], 2, v[5:6]
	v_add_nc_u32_e32 v5, s4, v5
	s_delay_alu instid0(VALU_DEP_4) | instskip(NEXT) | instid1(VALU_DEP_4)
	v_cmp_le_i64_e32 vcc_lo, s[12:13], v[1:2]
	v_add_co_u32 v6, s0, s14, v7
	s_delay_alu instid0(VALU_DEP_1) | instskip(SKIP_1) | instid1(VALU_DEP_1)
	v_add_co_ci_u32_e64 v7, s0, s15, v8, s0
	v_add_co_u32 v8, s0, s2, v9
	v_add_co_ci_u32_e64 v9, s0, s3, v10, s0
	s_or_b32 s1, vcc_lo, s1
	global_store_b64 v[6:7], v[3:4], off
	global_store_b32 v[8:9], v0, off
	s_and_not1_b32 exec_lo, exec_lo, s1
	s_cbranch_execnz .LBB2_6
.LBB2_7:
	s_nop 0
	s_sendmsg sendmsg(MSG_DEALLOC_VGPRS)
	s_endpgm
	.section	.rodata,"a",@progbits
	.p2align	6, 0x0
	.amdhsa_kernel _ZN9rocsparseL14csr2ell_kernelILj512EiilEEvT2_PKT0_PKT1_PKS1_21rocsparse_index_base_S1_PS1_PS2_SA_
		.amdhsa_group_segment_fixed_size 0
		.amdhsa_private_segment_fixed_size 0
		.amdhsa_kernarg_size 68
		.amdhsa_user_sgpr_count 15
		.amdhsa_user_sgpr_dispatch_ptr 0
		.amdhsa_user_sgpr_queue_ptr 0
		.amdhsa_user_sgpr_kernarg_segment_ptr 1
		.amdhsa_user_sgpr_dispatch_id 0
		.amdhsa_user_sgpr_private_segment_size 0
		.amdhsa_wavefront_size32 1
		.amdhsa_uses_dynamic_stack 0
		.amdhsa_enable_private_segment 0
		.amdhsa_system_sgpr_workgroup_id_x 1
		.amdhsa_system_sgpr_workgroup_id_y 0
		.amdhsa_system_sgpr_workgroup_id_z 0
		.amdhsa_system_sgpr_workgroup_info 0
		.amdhsa_system_vgpr_workitem_id 0
		.amdhsa_next_free_vgpr 16
		.amdhsa_next_free_sgpr 17
		.amdhsa_reserve_vcc 1
		.amdhsa_float_round_mode_32 0
		.amdhsa_float_round_mode_16_64 0
		.amdhsa_float_denorm_mode_32 3
		.amdhsa_float_denorm_mode_16_64 3
		.amdhsa_dx10_clamp 1
		.amdhsa_ieee_mode 1
		.amdhsa_fp16_overflow 0
		.amdhsa_workgroup_processor_mode 1
		.amdhsa_memory_ordered 1
		.amdhsa_forward_progress 0
		.amdhsa_shared_vgpr_count 0
		.amdhsa_exception_fp_ieee_invalid_op 0
		.amdhsa_exception_fp_denorm_src 0
		.amdhsa_exception_fp_ieee_div_zero 0
		.amdhsa_exception_fp_ieee_overflow 0
		.amdhsa_exception_fp_ieee_underflow 0
		.amdhsa_exception_fp_ieee_inexact 0
		.amdhsa_exception_int_div_zero 0
	.end_amdhsa_kernel
	.section	.text._ZN9rocsparseL14csr2ell_kernelILj512EiilEEvT2_PKT0_PKT1_PKS1_21rocsparse_index_base_S1_PS1_PS2_SA_,"axG",@progbits,_ZN9rocsparseL14csr2ell_kernelILj512EiilEEvT2_PKT0_PKT1_PKS1_21rocsparse_index_base_S1_PS1_PS2_SA_,comdat
.Lfunc_end2:
	.size	_ZN9rocsparseL14csr2ell_kernelILj512EiilEEvT2_PKT0_PKT1_PKS1_21rocsparse_index_base_S1_PS1_PS2_SA_, .Lfunc_end2-_ZN9rocsparseL14csr2ell_kernelILj512EiilEEvT2_PKT0_PKT1_PKS1_21rocsparse_index_base_S1_PS1_PS2_SA_
                                        ; -- End function
	.section	.AMDGPU.csdata,"",@progbits
; Kernel info:
; codeLenInByte = 604
; NumSgprs: 19
; NumVgprs: 16
; ScratchSize: 0
; MemoryBound: 0
; FloatMode: 240
; IeeeMode: 1
; LDSByteSize: 0 bytes/workgroup (compile time only)
; SGPRBlocks: 2
; VGPRBlocks: 1
; NumSGPRsForWavesPerEU: 19
; NumVGPRsForWavesPerEU: 16
; Occupancy: 16
; WaveLimiterHint : 0
; COMPUTE_PGM_RSRC2:SCRATCH_EN: 0
; COMPUTE_PGM_RSRC2:USER_SGPR: 15
; COMPUTE_PGM_RSRC2:TRAP_HANDLER: 0
; COMPUTE_PGM_RSRC2:TGID_X_EN: 1
; COMPUTE_PGM_RSRC2:TGID_Y_EN: 0
; COMPUTE_PGM_RSRC2:TGID_Z_EN: 0
; COMPUTE_PGM_RSRC2:TIDIG_COMP_CNT: 0
	.section	.text._ZN9rocsparseL14csr2ell_kernelILj512EillEEvT2_PKT0_PKT1_PKS1_21rocsparse_index_base_S1_PS1_PS2_SA_,"axG",@progbits,_ZN9rocsparseL14csr2ell_kernelILj512EillEEvT2_PKT0_PKT1_PKS1_21rocsparse_index_base_S1_PS1_PS2_SA_,comdat
	.globl	_ZN9rocsparseL14csr2ell_kernelILj512EillEEvT2_PKT0_PKT1_PKS1_21rocsparse_index_base_S1_PS1_PS2_SA_ ; -- Begin function _ZN9rocsparseL14csr2ell_kernelILj512EillEEvT2_PKT0_PKT1_PKS1_21rocsparse_index_base_S1_PS1_PS2_SA_
	.p2align	8
	.type	_ZN9rocsparseL14csr2ell_kernelILj512EillEEvT2_PKT0_PKT1_PKS1_21rocsparse_index_base_S1_PS1_PS2_SA_,@function
_ZN9rocsparseL14csr2ell_kernelILj512EillEEvT2_PKT0_PKT1_PKS1_21rocsparse_index_base_S1_PS1_PS2_SA_: ; @_ZN9rocsparseL14csr2ell_kernelILj512EillEEvT2_PKT0_PKT1_PKS1_21rocsparse_index_base_S1_PS1_PS2_SA_
; %bb.0:
	s_load_b256 s[4:11], s[0:1], 0x0
	v_lshl_or_b32 v4, s15, 9, v0
	v_mov_b32_e32 v5, 0
	s_mov_b32 s2, exec_lo
	s_waitcnt lgkmcnt(0)
	s_delay_alu instid0(VALU_DEP_1)
	v_cmpx_gt_i64_e64 s[4:5], v[4:5]
	s_cbranch_execz .LBB3_7
; %bb.1:
	v_lshlrev_b64 v[6:7], 3, v[4:5]
	s_mov_b32 s16, 0
	s_delay_alu instid0(VALU_DEP_1) | instskip(NEXT) | instid1(VALU_DEP_2)
	v_add_co_u32 v0, vcc_lo, s8, v6
	v_add_co_ci_u32_e32 v1, vcc_lo, s9, v7, vcc_lo
	global_load_b128 v[0:3], v[0:1], off
	s_clause 0x2
	s_load_b32 s8, s[0:1], 0x20
	s_load_b128 s[12:15], s[0:1], 0x28
	s_load_b64 s[2:3], s[0:1], 0x38
	s_waitcnt lgkmcnt(0)
	v_cmp_gt_i64_e64 s9, s[12:13], 0
	s_waitcnt vmcnt(0)
	v_sub_co_u32 v8, vcc_lo, v0, s8
	v_subrev_co_ci_u32_e32 v14, vcc_lo, 0, v1, vcc_lo
	v_sub_co_u32 v1, vcc_lo, v2, s8
	v_subrev_co_ci_u32_e32 v2, vcc_lo, 0, v3, vcc_lo
	s_delay_alu instid0(VALU_DEP_4) | instskip(NEXT) | instid1(VALU_DEP_1)
	v_ashrrev_i32_e32 v9, 31, v8
	v_cmp_gt_i64_e32 vcc_lo, v[1:2], v[8:9]
	s_and_b32 s9, s9, vcc_lo
	s_delay_alu instid0(SALU_CYCLE_1)
	s_and_saveexec_b32 s17, s9
	s_cbranch_execz .LBB3_4
; %bb.2:
	s_load_b32 s0, s[0:1], 0x40
	v_subrev_nc_u32_e32 v0, s8, v0
	v_dual_mov_b32 v10, v4 :: v_dual_mov_b32 v13, v9
	v_mov_b32_e32 v12, v8
	s_delay_alu instid0(VALU_DEP_3) | instskip(NEXT) | instid1(VALU_DEP_1)
	v_dual_mov_b32 v9, v8 :: v_dual_add_nc_u32 v0, 1, v0
	v_ashrrev_i32_e32 v3, 31, v0
	s_waitcnt lgkmcnt(0)
	s_sub_u32 s1, s0, s8
	s_subb_u32 s18, 0, 0
	s_mov_b64 s[8:9], 1
.LBB3_3:                                ; =>This Inner Loop Header: Depth=1
	v_lshlrev_b64 v[15:16], 3, v[12:13]
	v_lshlrev_b64 v[11:12], 2, v[12:13]
	v_cmp_ge_i64_e64 s19, s[8:9], s[12:13]
	s_delay_alu instid0(VALU_DEP_3) | instskip(NEXT) | instid1(VALU_DEP_4)
	v_add_co_u32 v15, vcc_lo, s10, v15
	v_add_co_ci_u32_e32 v16, vcc_lo, s11, v16, vcc_lo
	s_delay_alu instid0(VALU_DEP_4)
	v_add_co_u32 v11, vcc_lo, s6, v11
	v_add_co_ci_u32_e32 v12, vcc_lo, s7, v12, vcc_lo
	global_load_b64 v[15:16], v[15:16], off
	global_load_b32 v23, v[11:12], off
	v_add_nc_u32_e32 v12, 1, v9
	v_add_co_u32 v9, vcc_lo, v0, s8
	v_ashrrev_i32_e32 v11, 31, v10
	v_add_co_ci_u32_e32 v13, vcc_lo, s9, v3, vcc_lo
	s_delay_alu instid0(VALU_DEP_3) | instskip(NEXT) | instid1(VALU_DEP_3)
	v_add_co_u32 v19, vcc_lo, v9, -1
	v_lshlrev_b64 v[17:18], 3, v[10:11]
	s_delay_alu instid0(VALU_DEP_3) | instskip(SKIP_3) | instid1(VALU_DEP_4)
	v_add_co_ci_u32_e32 v20, vcc_lo, -1, v13, vcc_lo
	v_lshlrev_b64 v[21:22], 2, v[10:11]
	v_ashrrev_i32_e32 v13, 31, v12
	v_dual_mov_b32 v9, v12 :: v_dual_add_nc_u32 v10, s4, v10
	v_cmp_le_i64_e32 vcc_lo, v[1:2], v[19:20]
	v_add_co_u32 v17, s0, s14, v17
	s_delay_alu instid0(VALU_DEP_1) | instskip(SKIP_1) | instid1(VALU_DEP_1)
	v_add_co_ci_u32_e64 v18, s0, s15, v18, s0
	v_add_co_u32 v19, s0, s2, v21
	v_add_co_ci_u32_e64 v20, s0, s3, v22, s0
	s_or_b32 s0, vcc_lo, s19
	s_add_u32 s8, s8, 1
	s_addc_u32 s9, s9, 0
	s_and_b32 s0, exec_lo, s0
	s_delay_alu instid0(SALU_CYCLE_1)
	s_or_b32 s16, s0, s16
	s_waitcnt vmcnt(1)
	v_add_co_u32 v15, vcc_lo, s1, v15
	v_add_co_ci_u32_e32 v16, vcc_lo, s18, v16, vcc_lo
	s_waitcnt vmcnt(0)
	global_store_b32 v[19:20], v23, off
	global_store_b64 v[17:18], v[15:16], off
	s_and_not1_b32 exec_lo, exec_lo, s16
	s_cbranch_execnz .LBB3_3
.LBB3_4:
	s_or_b32 exec_lo, exec_lo, s17
	v_sub_co_u32 v0, vcc_lo, v1, v8
	v_sub_co_ci_u32_e32 v1, vcc_lo, v2, v14, vcc_lo
	s_delay_alu instid0(VALU_DEP_1)
	v_cmp_gt_i64_e32 vcc_lo, s[12:13], v[0:1]
	s_and_b32 exec_lo, exec_lo, vcc_lo
	s_cbranch_execz .LBB3_7
; %bb.5:
	v_mul_lo_u32 v2, s5, v0
	v_mul_lo_u32 v3, s4, v1
	v_mad_u64_u32 v[8:9], null, s4, v0, 0
	s_mov_b32 s1, 0
	s_delay_alu instid0(VALU_DEP_1) | instskip(SKIP_2) | instid1(VALU_DEP_3)
	v_add3_u32 v9, v9, v3, v2
	v_lshlrev_b64 v[3:4], 2, v[4:5]
	v_mov_b32_e32 v2, -1
	v_lshlrev_b64 v[10:11], 3, v[8:9]
	v_lshlrev_b64 v[8:9], 2, v[8:9]
	s_delay_alu instid0(VALU_DEP_2) | instskip(NEXT) | instid1(VALU_DEP_3)
	v_add_co_u32 v5, vcc_lo, v10, v6
	v_add_co_ci_u32_e32 v6, vcc_lo, v11, v7, vcc_lo
	s_delay_alu instid0(VALU_DEP_3) | instskip(NEXT) | instid1(VALU_DEP_4)
	v_add_co_u32 v3, vcc_lo, v8, v3
	v_add_co_ci_u32_e32 v7, vcc_lo, v9, v4, vcc_lo
	s_delay_alu instid0(VALU_DEP_4) | instskip(NEXT) | instid1(VALU_DEP_4)
	v_add_co_u32 v4, vcc_lo, s14, v5
	v_add_co_ci_u32_e32 v5, vcc_lo, s15, v6, vcc_lo
	s_delay_alu instid0(VALU_DEP_4) | instskip(NEXT) | instid1(VALU_DEP_4)
	v_add_co_u32 v6, vcc_lo, s2, v3
	v_add_co_ci_u32_e32 v7, vcc_lo, s3, v7, vcc_lo
	v_dual_mov_b32 v3, v2 :: v_dual_mov_b32 v8, 0
	s_lshl_b64 s[2:3], s[4:5], 3
	s_lshl_b64 s[4:5], s[4:5], 2
	.p2align	6
.LBB3_6:                                ; =>This Inner Loop Header: Depth=1
	v_add_co_u32 v0, vcc_lo, v0, 1
	v_add_co_ci_u32_e32 v1, vcc_lo, 0, v1, vcc_lo
	global_store_b64 v[4:5], v[2:3], off
	global_store_b32 v[6:7], v8, off
	v_add_co_u32 v4, vcc_lo, v4, s2
	v_add_co_ci_u32_e32 v5, vcc_lo, s3, v5, vcc_lo
	v_cmp_le_i64_e32 vcc_lo, s[12:13], v[0:1]
	v_add_co_u32 v6, s0, v6, s4
	s_delay_alu instid0(VALU_DEP_1) | instskip(SKIP_1) | instid1(SALU_CYCLE_1)
	v_add_co_ci_u32_e64 v7, s0, s5, v7, s0
	s_or_b32 s1, vcc_lo, s1
	s_and_not1_b32 exec_lo, exec_lo, s1
	s_cbranch_execnz .LBB3_6
.LBB3_7:
	s_nop 0
	s_sendmsg sendmsg(MSG_DEALLOC_VGPRS)
	s_endpgm
	.section	.rodata,"a",@progbits
	.p2align	6, 0x0
	.amdhsa_kernel _ZN9rocsparseL14csr2ell_kernelILj512EillEEvT2_PKT0_PKT1_PKS1_21rocsparse_index_base_S1_PS1_PS2_SA_
		.amdhsa_group_segment_fixed_size 0
		.amdhsa_private_segment_fixed_size 0
		.amdhsa_kernarg_size 68
		.amdhsa_user_sgpr_count 15
		.amdhsa_user_sgpr_dispatch_ptr 0
		.amdhsa_user_sgpr_queue_ptr 0
		.amdhsa_user_sgpr_kernarg_segment_ptr 1
		.amdhsa_user_sgpr_dispatch_id 0
		.amdhsa_user_sgpr_private_segment_size 0
		.amdhsa_wavefront_size32 1
		.amdhsa_uses_dynamic_stack 0
		.amdhsa_enable_private_segment 0
		.amdhsa_system_sgpr_workgroup_id_x 1
		.amdhsa_system_sgpr_workgroup_id_y 0
		.amdhsa_system_sgpr_workgroup_id_z 0
		.amdhsa_system_sgpr_workgroup_info 0
		.amdhsa_system_vgpr_workitem_id 0
		.amdhsa_next_free_vgpr 24
		.amdhsa_next_free_sgpr 20
		.amdhsa_reserve_vcc 1
		.amdhsa_float_round_mode_32 0
		.amdhsa_float_round_mode_16_64 0
		.amdhsa_float_denorm_mode_32 3
		.amdhsa_float_denorm_mode_16_64 3
		.amdhsa_dx10_clamp 1
		.amdhsa_ieee_mode 1
		.amdhsa_fp16_overflow 0
		.amdhsa_workgroup_processor_mode 1
		.amdhsa_memory_ordered 1
		.amdhsa_forward_progress 0
		.amdhsa_shared_vgpr_count 0
		.amdhsa_exception_fp_ieee_invalid_op 0
		.amdhsa_exception_fp_denorm_src 0
		.amdhsa_exception_fp_ieee_div_zero 0
		.amdhsa_exception_fp_ieee_overflow 0
		.amdhsa_exception_fp_ieee_underflow 0
		.amdhsa_exception_fp_ieee_inexact 0
		.amdhsa_exception_int_div_zero 0
	.end_amdhsa_kernel
	.section	.text._ZN9rocsparseL14csr2ell_kernelILj512EillEEvT2_PKT0_PKT1_PKS1_21rocsparse_index_base_S1_PS1_PS2_SA_,"axG",@progbits,_ZN9rocsparseL14csr2ell_kernelILj512EillEEvT2_PKT0_PKT1_PKS1_21rocsparse_index_base_S1_PS1_PS2_SA_,comdat
.Lfunc_end3:
	.size	_ZN9rocsparseL14csr2ell_kernelILj512EillEEvT2_PKT0_PKT1_PKS1_21rocsparse_index_base_S1_PS1_PS2_SA_, .Lfunc_end3-_ZN9rocsparseL14csr2ell_kernelILj512EillEEvT2_PKT0_PKT1_PKS1_21rocsparse_index_base_S1_PS1_PS2_SA_
                                        ; -- End function
	.section	.AMDGPU.csdata,"",@progbits
; Kernel info:
; codeLenInByte = 748
; NumSgprs: 22
; NumVgprs: 24
; ScratchSize: 0
; MemoryBound: 0
; FloatMode: 240
; IeeeMode: 1
; LDSByteSize: 0 bytes/workgroup (compile time only)
; SGPRBlocks: 2
; VGPRBlocks: 2
; NumSGPRsForWavesPerEU: 22
; NumVGPRsForWavesPerEU: 24
; Occupancy: 16
; WaveLimiterHint : 0
; COMPUTE_PGM_RSRC2:SCRATCH_EN: 0
; COMPUTE_PGM_RSRC2:USER_SGPR: 15
; COMPUTE_PGM_RSRC2:TRAP_HANDLER: 0
; COMPUTE_PGM_RSRC2:TGID_X_EN: 1
; COMPUTE_PGM_RSRC2:TGID_Y_EN: 0
; COMPUTE_PGM_RSRC2:TGID_Z_EN: 0
; COMPUTE_PGM_RSRC2:TIDIG_COMP_CNT: 0
	.section	.text._ZN9rocsparseL14csr2ell_kernelILj512EfiiEEvT2_PKT0_PKT1_PKS1_21rocsparse_index_base_S1_PS1_PS2_SA_,"axG",@progbits,_ZN9rocsparseL14csr2ell_kernelILj512EfiiEEvT2_PKT0_PKT1_PKS1_21rocsparse_index_base_S1_PS1_PS2_SA_,comdat
	.globl	_ZN9rocsparseL14csr2ell_kernelILj512EfiiEEvT2_PKT0_PKT1_PKS1_21rocsparse_index_base_S1_PS1_PS2_SA_ ; -- Begin function _ZN9rocsparseL14csr2ell_kernelILj512EfiiEEvT2_PKT0_PKT1_PKS1_21rocsparse_index_base_S1_PS1_PS2_SA_
	.p2align	8
	.type	_ZN9rocsparseL14csr2ell_kernelILj512EfiiEEvT2_PKT0_PKT1_PKS1_21rocsparse_index_base_S1_PS1_PS2_SA_,@function
_ZN9rocsparseL14csr2ell_kernelILj512EfiiEEvT2_PKT0_PKT1_PKS1_21rocsparse_index_base_S1_PS1_PS2_SA_: ; @_ZN9rocsparseL14csr2ell_kernelILj512EfiiEEvT2_PKT0_PKT1_PKS1_21rocsparse_index_base_S1_PS1_PS2_SA_
; %bb.0:
	s_load_b32 s12, s[0:1], 0x0
	s_lshl_b32 s13, s15, 9
	s_mov_b32 s2, exec_lo
	v_or_b32_e32 v1, s13, v0
	s_waitcnt lgkmcnt(0)
	s_delay_alu instid0(VALU_DEP_1)
	v_cmpx_gt_i32_e64 s12, v1
	s_cbranch_execz .LBB4_7
; %bb.1:
	s_clause 0x1
	s_load_b128 s[8:11], s[0:1], 0x8
	s_load_b64 s[2:3], s[0:1], 0x20
	v_ashrrev_i32_e32 v2, 31, v1
	s_load_b128 s[4:7], s[0:1], 0x28
	s_delay_alu instid0(VALU_DEP_1) | instskip(SKIP_1) | instid1(VALU_DEP_1)
	v_lshlrev_b64 v[2:3], 2, v[1:2]
	s_waitcnt lgkmcnt(0)
	v_add_co_u32 v2, vcc_lo, s10, v2
	s_delay_alu instid0(VALU_DEP_2)
	v_add_co_ci_u32_e32 v3, vcc_lo, s11, v3, vcc_lo
	s_cmp_gt_i32 s3, 0
	s_mov_b32 s10, 0
	s_cselect_b32 s11, -1, 0
	global_load_b64 v[4:5], v[2:3], off
	s_waitcnt vmcnt(0)
	v_cmp_lt_i32_e32 vcc_lo, v4, v5
	v_subrev_nc_u32_e32 v3, s2, v4
	v_subrev_nc_u32_e32 v8, s2, v5
	s_and_b32 s14, s11, vcc_lo
	s_delay_alu instid0(SALU_CYCLE_1)
	s_and_saveexec_b32 s11, s14
	s_cbranch_execz .LBB4_4
; %bb.2:
	s_clause 0x1
	s_load_b64 s[14:15], s[0:1], 0x18
	s_load_b32 s0, s[0:1], 0x38
	v_ashrrev_i32_e32 v4, 31, v3
	s_mov_b32 s1, 1
	s_delay_alu instid0(VALU_DEP_1) | instskip(SKIP_1) | instid1(VALU_DEP_1)
	v_lshlrev_b64 v[6:7], 2, v[3:4]
	s_waitcnt lgkmcnt(0)
	v_add_co_u32 v4, vcc_lo, s14, v6
	s_delay_alu instid0(VALU_DEP_2)
	v_add_co_ci_u32_e32 v5, vcc_lo, s15, v7, vcc_lo
	v_add_co_u32 v6, vcc_lo, s8, v6
	v_add_co_ci_u32_e32 v7, vcc_lo, s9, v7, vcc_lo
	s_sub_i32 s0, s0, s2
	s_set_inst_prefetch_distance 0x1
	.p2align	6
.LBB4_3:                                ; =>This Inner Loop Header: Depth=1
	global_load_b32 v13, v[4:5], off
	global_load_b32 v14, v[6:7], off
	v_add_co_u32 v4, vcc_lo, v4, 4
	v_ashrrev_i32_e32 v2, 31, v1
	v_add_nc_u32_e32 v9, s1, v3
	v_add_co_ci_u32_e32 v5, vcc_lo, 0, v5, vcc_lo
	v_add_co_u32 v6, vcc_lo, v6, 4
	v_add_co_ci_u32_e32 v7, vcc_lo, 0, v7, vcc_lo
	s_delay_alu instid0(VALU_DEP_4)
	v_cmp_ge_i32_e32 vcc_lo, v9, v8
	v_lshlrev_b64 v[9:10], 2, v[1:2]
	s_cmp_ge_i32 s1, s3
	v_add_nc_u32_e32 v1, s12, v1
	s_cselect_b32 s2, -1, 0
	s_add_i32 s1, s1, 1
	s_or_b32 s2, vcc_lo, s2
	v_add_co_u32 v11, vcc_lo, s4, v9
	v_add_co_ci_u32_e32 v12, vcc_lo, s5, v10, vcc_lo
	v_add_co_u32 v9, vcc_lo, s6, v9
	v_add_co_ci_u32_e32 v10, vcc_lo, s7, v10, vcc_lo
	s_and_b32 s2, exec_lo, s2
	s_delay_alu instid0(SALU_CYCLE_1)
	s_or_b32 s10, s2, s10
	s_waitcnt vmcnt(1)
	v_add_nc_u32_e32 v2, s0, v13
	s_waitcnt vmcnt(0)
	global_store_b32 v[9:10], v14, off
	global_store_b32 v[11:12], v2, off
	s_and_not1_b32 exec_lo, exec_lo, s10
	s_cbranch_execnz .LBB4_3
.LBB4_4:
	s_set_inst_prefetch_distance 0x2
	s_or_b32 exec_lo, exec_lo, s11
	v_sub_nc_u32_e32 v2, v8, v3
	s_delay_alu instid0(VALU_DEP_1)
	v_cmp_gt_i32_e32 vcc_lo, s3, v2
	s_and_b32 exec_lo, exec_lo, vcc_lo
	s_cbranch_execz .LBB4_7
; %bb.5:
	v_mul_lo_u32 v1, s12, v2
	v_dual_mov_b32 v3, -1 :: v_dual_mov_b32 v4, 0
	s_mov_b32 s1, 0
	s_delay_alu instid0(VALU_DEP_2)
	v_add3_u32 v0, v0, v1, s13
	.p2align	6
.LBB4_6:                                ; =>This Inner Loop Header: Depth=1
	s_delay_alu instid0(VALU_DEP_1) | instskip(SKIP_1) | instid1(VALU_DEP_2)
	v_ashrrev_i32_e32 v1, 31, v0
	v_add_nc_u32_e32 v2, 1, v2
	v_lshlrev_b64 v[5:6], 2, v[0:1]
	s_delay_alu instid0(VALU_DEP_2) | instskip(SKIP_2) | instid1(VALU_DEP_3)
	v_cmp_le_i32_e32 vcc_lo, s3, v2
	v_add_nc_u32_e32 v0, s12, v0
	s_or_b32 s1, vcc_lo, s1
	v_add_co_u32 v7, s0, s4, v5
	s_delay_alu instid0(VALU_DEP_1) | instskip(SKIP_1) | instid1(VALU_DEP_1)
	v_add_co_ci_u32_e64 v8, s0, s5, v6, s0
	v_add_co_u32 v5, s0, s6, v5
	v_add_co_ci_u32_e64 v6, s0, s7, v6, s0
	global_store_b32 v[7:8], v3, off
	global_store_b32 v[5:6], v4, off
	s_and_not1_b32 exec_lo, exec_lo, s1
	s_cbranch_execnz .LBB4_6
.LBB4_7:
	s_nop 0
	s_sendmsg sendmsg(MSG_DEALLOC_VGPRS)
	s_endpgm
	.section	.rodata,"a",@progbits
	.p2align	6, 0x0
	.amdhsa_kernel _ZN9rocsparseL14csr2ell_kernelILj512EfiiEEvT2_PKT0_PKT1_PKS1_21rocsparse_index_base_S1_PS1_PS2_SA_
		.amdhsa_group_segment_fixed_size 0
		.amdhsa_private_segment_fixed_size 0
		.amdhsa_kernarg_size 60
		.amdhsa_user_sgpr_count 15
		.amdhsa_user_sgpr_dispatch_ptr 0
		.amdhsa_user_sgpr_queue_ptr 0
		.amdhsa_user_sgpr_kernarg_segment_ptr 1
		.amdhsa_user_sgpr_dispatch_id 0
		.amdhsa_user_sgpr_private_segment_size 0
		.amdhsa_wavefront_size32 1
		.amdhsa_uses_dynamic_stack 0
		.amdhsa_enable_private_segment 0
		.amdhsa_system_sgpr_workgroup_id_x 1
		.amdhsa_system_sgpr_workgroup_id_y 0
		.amdhsa_system_sgpr_workgroup_id_z 0
		.amdhsa_system_sgpr_workgroup_info 0
		.amdhsa_system_vgpr_workitem_id 0
		.amdhsa_next_free_vgpr 15
		.amdhsa_next_free_sgpr 16
		.amdhsa_reserve_vcc 1
		.amdhsa_float_round_mode_32 0
		.amdhsa_float_round_mode_16_64 0
		.amdhsa_float_denorm_mode_32 3
		.amdhsa_float_denorm_mode_16_64 3
		.amdhsa_dx10_clamp 1
		.amdhsa_ieee_mode 1
		.amdhsa_fp16_overflow 0
		.amdhsa_workgroup_processor_mode 1
		.amdhsa_memory_ordered 1
		.amdhsa_forward_progress 0
		.amdhsa_shared_vgpr_count 0
		.amdhsa_exception_fp_ieee_invalid_op 0
		.amdhsa_exception_fp_denorm_src 0
		.amdhsa_exception_fp_ieee_div_zero 0
		.amdhsa_exception_fp_ieee_overflow 0
		.amdhsa_exception_fp_ieee_underflow 0
		.amdhsa_exception_fp_ieee_inexact 0
		.amdhsa_exception_int_div_zero 0
	.end_amdhsa_kernel
	.section	.text._ZN9rocsparseL14csr2ell_kernelILj512EfiiEEvT2_PKT0_PKT1_PKS1_21rocsparse_index_base_S1_PS1_PS2_SA_,"axG",@progbits,_ZN9rocsparseL14csr2ell_kernelILj512EfiiEEvT2_PKT0_PKT1_PKS1_21rocsparse_index_base_S1_PS1_PS2_SA_,comdat
.Lfunc_end4:
	.size	_ZN9rocsparseL14csr2ell_kernelILj512EfiiEEvT2_PKT0_PKT1_PKS1_21rocsparse_index_base_S1_PS1_PS2_SA_, .Lfunc_end4-_ZN9rocsparseL14csr2ell_kernelILj512EfiiEEvT2_PKT0_PKT1_PKS1_21rocsparse_index_base_S1_PS1_PS2_SA_
                                        ; -- End function
	.section	.AMDGPU.csdata,"",@progbits
; Kernel info:
; codeLenInByte = 560
; NumSgprs: 18
; NumVgprs: 15
; ScratchSize: 0
; MemoryBound: 0
; FloatMode: 240
; IeeeMode: 1
; LDSByteSize: 0 bytes/workgroup (compile time only)
; SGPRBlocks: 2
; VGPRBlocks: 1
; NumSGPRsForWavesPerEU: 18
; NumVGPRsForWavesPerEU: 15
; Occupancy: 16
; WaveLimiterHint : 0
; COMPUTE_PGM_RSRC2:SCRATCH_EN: 0
; COMPUTE_PGM_RSRC2:USER_SGPR: 15
; COMPUTE_PGM_RSRC2:TRAP_HANDLER: 0
; COMPUTE_PGM_RSRC2:TGID_X_EN: 1
; COMPUTE_PGM_RSRC2:TGID_Y_EN: 0
; COMPUTE_PGM_RSRC2:TGID_Z_EN: 0
; COMPUTE_PGM_RSRC2:TIDIG_COMP_CNT: 0
	.section	.text._ZN9rocsparseL14csr2ell_kernelILj512EfliEEvT2_PKT0_PKT1_PKS1_21rocsparse_index_base_S1_PS1_PS2_SA_,"axG",@progbits,_ZN9rocsparseL14csr2ell_kernelILj512EfliEEvT2_PKT0_PKT1_PKS1_21rocsparse_index_base_S1_PS1_PS2_SA_,comdat
	.globl	_ZN9rocsparseL14csr2ell_kernelILj512EfliEEvT2_PKT0_PKT1_PKS1_21rocsparse_index_base_S1_PS1_PS2_SA_ ; -- Begin function _ZN9rocsparseL14csr2ell_kernelILj512EfliEEvT2_PKT0_PKT1_PKS1_21rocsparse_index_base_S1_PS1_PS2_SA_
	.p2align	8
	.type	_ZN9rocsparseL14csr2ell_kernelILj512EfliEEvT2_PKT0_PKT1_PKS1_21rocsparse_index_base_S1_PS1_PS2_SA_,@function
_ZN9rocsparseL14csr2ell_kernelILj512EfliEEvT2_PKT0_PKT1_PKS1_21rocsparse_index_base_S1_PS1_PS2_SA_: ; @_ZN9rocsparseL14csr2ell_kernelILj512EfliEEvT2_PKT0_PKT1_PKS1_21rocsparse_index_base_S1_PS1_PS2_SA_
; %bb.0:
	s_load_b32 s12, s[0:1], 0x0
	s_lshl_b32 s13, s15, 9
	s_mov_b32 s2, exec_lo
	v_or_b32_e32 v5, s13, v0
	s_waitcnt lgkmcnt(0)
	s_delay_alu instid0(VALU_DEP_1)
	v_cmpx_gt_i32_e64 s12, v5
	s_cbranch_execz .LBB5_7
; %bb.1:
	s_clause 0x1
	s_load_b128 s[8:11], s[0:1], 0x8
	s_load_b64 s[2:3], s[0:1], 0x20
	v_ashrrev_i32_e32 v6, 31, v5
	s_load_b128 s[4:7], s[0:1], 0x28
	s_mov_b32 s14, 0
	s_delay_alu instid0(VALU_DEP_1) | instskip(SKIP_1) | instid1(VALU_DEP_1)
	v_lshlrev_b64 v[1:2], 3, v[5:6]
	s_waitcnt lgkmcnt(0)
	v_add_co_u32 v1, vcc_lo, s10, v1
	s_delay_alu instid0(VALU_DEP_2)
	v_add_co_ci_u32_e32 v2, vcc_lo, s11, v2, vcc_lo
	s_cmp_gt_i32 s3, 0
	s_cselect_b32 s10, -1, 0
	global_load_b128 v[1:4], v[1:2], off
	s_waitcnt vmcnt(0)
	v_sub_co_u32 v2, null, v1, s2
	v_sub_co_u32 v7, vcc_lo, v3, s2
	v_subrev_co_ci_u32_e32 v8, vcc_lo, 0, v4, vcc_lo
	s_delay_alu instid0(VALU_DEP_3) | instskip(NEXT) | instid1(VALU_DEP_1)
	v_ashrrev_i32_e32 v3, 31, v2
	v_cmp_gt_i64_e32 vcc_lo, v[7:8], v[2:3]
	s_and_b32 s10, s10, vcc_lo
	s_delay_alu instid0(SALU_CYCLE_1)
	s_and_saveexec_b32 s15, s10
	s_cbranch_execz .LBB5_4
; %bb.2:
	s_clause 0x1
	s_load_b32 s16, s[0:1], 0x38
	s_load_b64 s[10:11], s[0:1], 0x18
	v_subrev_nc_u32_e32 v1, s2, v1
	v_mov_b32_e32 v10, v2
	s_mov_b64 s[0:1], 0
	v_mov_b32_e32 v4, v3
	v_mov_b32_e32 v3, v2
	v_add_nc_u32_e32 v1, 1, v1
	s_delay_alu instid0(VALU_DEP_1)
	v_ashrrev_i32_e32 v9, 31, v1
	s_waitcnt lgkmcnt(0)
	s_sub_i32 s2, s16, s2
	s_set_inst_prefetch_distance 0x1
	.p2align	6
.LBB5_3:                                ; =>This Inner Loop Header: Depth=1
	v_lshlrev_b64 v[3:4], 2, v[3:4]
	v_ashrrev_i32_e32 v6, 31, v5
	s_add_u32 s16, s0, 1
	s_addc_u32 s17, s1, 0
	s_cmp_ge_i32 s16, s3
	s_delay_alu instid0(VALU_DEP_2)
	v_add_co_u32 v11, vcc_lo, s10, v3
	v_add_co_ci_u32_e32 v12, vcc_lo, s11, v4, vcc_lo
	v_add_co_u32 v3, vcc_lo, s8, v3
	v_add_co_ci_u32_e32 v4, vcc_lo, s9, v4, vcc_lo
	global_load_b32 v16, v[11:12], off
	global_load_b32 v17, v[3:4], off
	v_add_nc_u32_e32 v3, 1, v10
	v_add_co_u32 v10, vcc_lo, v1, s0
	v_lshlrev_b64 v[12:13], 2, v[5:6]
	v_add_co_ci_u32_e32 v11, vcc_lo, s1, v9, vcc_lo
	s_cselect_b32 s1, -1, 0
	v_ashrrev_i32_e32 v4, 31, v3
	v_add_nc_u32_e32 v5, s12, v5
	s_delay_alu instid0(VALU_DEP_3) | instskip(SKIP_2) | instid1(VALU_DEP_1)
	v_cmp_le_i64_e32 vcc_lo, v[7:8], v[10:11]
	v_mov_b32_e32 v10, v3
	v_add_co_u32 v14, s0, s4, v12
	v_add_co_ci_u32_e64 v15, s0, s5, v13, s0
	v_add_co_u32 v11, s0, s6, v12
	s_delay_alu instid0(VALU_DEP_1) | instskip(SKIP_1) | instid1(SALU_CYCLE_1)
	v_add_co_ci_u32_e64 v12, s0, s7, v13, s0
	s_or_b32 s0, vcc_lo, s1
	s_and_b32 s18, exec_lo, s0
	s_mov_b64 s[0:1], s[16:17]
	s_or_b32 s14, s18, s14
	s_waitcnt vmcnt(1)
	v_add_nc_u32_e32 v6, s2, v16
	s_waitcnt vmcnt(0)
	global_store_b32 v[11:12], v17, off
	global_store_b32 v[14:15], v6, off
	s_and_not1_b32 exec_lo, exec_lo, s14
	s_cbranch_execnz .LBB5_3
.LBB5_4:
	s_set_inst_prefetch_distance 0x2
	s_or_b32 exec_lo, exec_lo, s15
	v_sub_nc_u32_e32 v2, v7, v2
	s_delay_alu instid0(VALU_DEP_1)
	v_cmp_gt_i32_e32 vcc_lo, s3, v2
	s_and_b32 exec_lo, exec_lo, vcc_lo
	s_cbranch_execz .LBB5_7
; %bb.5:
	v_mul_lo_u32 v1, s12, v2
	v_dual_mov_b32 v3, -1 :: v_dual_mov_b32 v4, 0
	s_mov_b32 s1, 0
	s_delay_alu instid0(VALU_DEP_2)
	v_add3_u32 v0, v0, v1, s13
	.p2align	6
.LBB5_6:                                ; =>This Inner Loop Header: Depth=1
	s_delay_alu instid0(VALU_DEP_1) | instskip(SKIP_1) | instid1(VALU_DEP_2)
	v_ashrrev_i32_e32 v1, 31, v0
	v_add_nc_u32_e32 v2, 1, v2
	v_lshlrev_b64 v[5:6], 2, v[0:1]
	s_delay_alu instid0(VALU_DEP_2) | instskip(SKIP_2) | instid1(VALU_DEP_3)
	v_cmp_le_i32_e32 vcc_lo, s3, v2
	v_add_nc_u32_e32 v0, s12, v0
	s_or_b32 s1, vcc_lo, s1
	v_add_co_u32 v7, s0, s4, v5
	s_delay_alu instid0(VALU_DEP_1) | instskip(SKIP_1) | instid1(VALU_DEP_1)
	v_add_co_ci_u32_e64 v8, s0, s5, v6, s0
	v_add_co_u32 v5, s0, s6, v5
	v_add_co_ci_u32_e64 v6, s0, s7, v6, s0
	global_store_b32 v[7:8], v3, off
	global_store_b32 v[5:6], v4, off
	s_and_not1_b32 exec_lo, exec_lo, s1
	s_cbranch_execnz .LBB5_6
.LBB5_7:
	s_nop 0
	s_sendmsg sendmsg(MSG_DEALLOC_VGPRS)
	s_endpgm
	.section	.rodata,"a",@progbits
	.p2align	6, 0x0
	.amdhsa_kernel _ZN9rocsparseL14csr2ell_kernelILj512EfliEEvT2_PKT0_PKT1_PKS1_21rocsparse_index_base_S1_PS1_PS2_SA_
		.amdhsa_group_segment_fixed_size 0
		.amdhsa_private_segment_fixed_size 0
		.amdhsa_kernarg_size 60
		.amdhsa_user_sgpr_count 15
		.amdhsa_user_sgpr_dispatch_ptr 0
		.amdhsa_user_sgpr_queue_ptr 0
		.amdhsa_user_sgpr_kernarg_segment_ptr 1
		.amdhsa_user_sgpr_dispatch_id 0
		.amdhsa_user_sgpr_private_segment_size 0
		.amdhsa_wavefront_size32 1
		.amdhsa_uses_dynamic_stack 0
		.amdhsa_enable_private_segment 0
		.amdhsa_system_sgpr_workgroup_id_x 1
		.amdhsa_system_sgpr_workgroup_id_y 0
		.amdhsa_system_sgpr_workgroup_id_z 0
		.amdhsa_system_sgpr_workgroup_info 0
		.amdhsa_system_vgpr_workitem_id 0
		.amdhsa_next_free_vgpr 18
		.amdhsa_next_free_sgpr 19
		.amdhsa_reserve_vcc 1
		.amdhsa_float_round_mode_32 0
		.amdhsa_float_round_mode_16_64 0
		.amdhsa_float_denorm_mode_32 3
		.amdhsa_float_denorm_mode_16_64 3
		.amdhsa_dx10_clamp 1
		.amdhsa_ieee_mode 1
		.amdhsa_fp16_overflow 0
		.amdhsa_workgroup_processor_mode 1
		.amdhsa_memory_ordered 1
		.amdhsa_forward_progress 0
		.amdhsa_shared_vgpr_count 0
		.amdhsa_exception_fp_ieee_invalid_op 0
		.amdhsa_exception_fp_denorm_src 0
		.amdhsa_exception_fp_ieee_div_zero 0
		.amdhsa_exception_fp_ieee_overflow 0
		.amdhsa_exception_fp_ieee_underflow 0
		.amdhsa_exception_fp_ieee_inexact 0
		.amdhsa_exception_int_div_zero 0
	.end_amdhsa_kernel
	.section	.text._ZN9rocsparseL14csr2ell_kernelILj512EfliEEvT2_PKT0_PKT1_PKS1_21rocsparse_index_base_S1_PS1_PS2_SA_,"axG",@progbits,_ZN9rocsparseL14csr2ell_kernelILj512EfliEEvT2_PKT0_PKT1_PKS1_21rocsparse_index_base_S1_PS1_PS2_SA_,comdat
.Lfunc_end5:
	.size	_ZN9rocsparseL14csr2ell_kernelILj512EfliEEvT2_PKT0_PKT1_PKS1_21rocsparse_index_base_S1_PS1_PS2_SA_, .Lfunc_end5-_ZN9rocsparseL14csr2ell_kernelILj512EfliEEvT2_PKT0_PKT1_PKS1_21rocsparse_index_base_S1_PS1_PS2_SA_
                                        ; -- End function
	.section	.AMDGPU.csdata,"",@progbits
; Kernel info:
; codeLenInByte = 612
; NumSgprs: 21
; NumVgprs: 18
; ScratchSize: 0
; MemoryBound: 0
; FloatMode: 240
; IeeeMode: 1
; LDSByteSize: 0 bytes/workgroup (compile time only)
; SGPRBlocks: 2
; VGPRBlocks: 2
; NumSGPRsForWavesPerEU: 21
; NumVGPRsForWavesPerEU: 18
; Occupancy: 16
; WaveLimiterHint : 0
; COMPUTE_PGM_RSRC2:SCRATCH_EN: 0
; COMPUTE_PGM_RSRC2:USER_SGPR: 15
; COMPUTE_PGM_RSRC2:TRAP_HANDLER: 0
; COMPUTE_PGM_RSRC2:TGID_X_EN: 1
; COMPUTE_PGM_RSRC2:TGID_Y_EN: 0
; COMPUTE_PGM_RSRC2:TGID_Z_EN: 0
; COMPUTE_PGM_RSRC2:TIDIG_COMP_CNT: 0
	.section	.text._ZN9rocsparseL14csr2ell_kernelILj512EfilEEvT2_PKT0_PKT1_PKS1_21rocsparse_index_base_S1_PS1_PS2_SA_,"axG",@progbits,_ZN9rocsparseL14csr2ell_kernelILj512EfilEEvT2_PKT0_PKT1_PKS1_21rocsparse_index_base_S1_PS1_PS2_SA_,comdat
	.globl	_ZN9rocsparseL14csr2ell_kernelILj512EfilEEvT2_PKT0_PKT1_PKS1_21rocsparse_index_base_S1_PS1_PS2_SA_ ; -- Begin function _ZN9rocsparseL14csr2ell_kernelILj512EfilEEvT2_PKT0_PKT1_PKS1_21rocsparse_index_base_S1_PS1_PS2_SA_
	.p2align	8
	.type	_ZN9rocsparseL14csr2ell_kernelILj512EfilEEvT2_PKT0_PKT1_PKS1_21rocsparse_index_base_S1_PS1_PS2_SA_,@function
_ZN9rocsparseL14csr2ell_kernelILj512EfilEEvT2_PKT0_PKT1_PKS1_21rocsparse_index_base_S1_PS1_PS2_SA_: ; @_ZN9rocsparseL14csr2ell_kernelILj512EfilEEvT2_PKT0_PKT1_PKS1_21rocsparse_index_base_S1_PS1_PS2_SA_
; %bb.0:
	s_load_b256 s[4:11], s[0:1], 0x0
	s_lshl_b32 s16, s15, 9
	v_mov_b32_e32 v2, 0
	v_or_b32_e32 v1, s16, v0
	s_mov_b32 s2, exec_lo
	s_waitcnt lgkmcnt(0)
	s_delay_alu instid0(VALU_DEP_1)
	v_cmpx_gt_i64_e64 s[4:5], v[1:2]
	s_cbranch_execz .LBB6_7
; %bb.1:
	v_lshlrev_b64 v[2:3], 2, v[1:2]
	s_delay_alu instid0(VALU_DEP_1) | instskip(NEXT) | instid1(VALU_DEP_2)
	v_add_co_u32 v2, vcc_lo, s8, v2
	v_add_co_ci_u32_e32 v3, vcc_lo, s9, v3, vcc_lo
	global_load_b64 v[3:4], v[2:3], off
	s_clause 0x2
	s_load_b128 s[12:15], s[0:1], 0x28
	s_load_b32 s9, s[0:1], 0x20
	s_load_b64 s[2:3], s[0:1], 0x38
	s_waitcnt lgkmcnt(0)
	v_cmp_gt_i64_e64 s5, s[12:13], 0
	s_waitcnt vmcnt(0)
	v_cmp_lt_i32_e32 vcc_lo, v3, v4
	v_subrev_nc_u32_e32 v3, s9, v3
	v_subrev_nc_u32_e32 v8, s9, v4
	s_delay_alu instid0(VALU_DEP_4) | instskip(NEXT) | instid1(SALU_CYCLE_1)
	s_and_b32 s8, s5, vcc_lo
	s_and_saveexec_b32 s5, s8
	s_cbranch_execz .LBB6_4
; %bb.2:
	s_load_b32 s0, s[0:1], 0x40
	v_ashrrev_i32_e32 v4, 31, v3
	s_mov_b32 s8, 0
	s_delay_alu instid0(VALU_DEP_1) | instskip(SKIP_1) | instid1(VALU_DEP_2)
	v_lshlrev_b64 v[5:6], 3, v[3:4]
	v_lshlrev_b64 v[9:10], 2, v[3:4]
	v_add_co_u32 v4, vcc_lo, s10, v5
	s_delay_alu instid0(VALU_DEP_3) | instskip(NEXT) | instid1(VALU_DEP_3)
	v_add_co_ci_u32_e32 v5, vcc_lo, s11, v6, vcc_lo
	v_add_co_u32 v6, vcc_lo, s6, v9
	s_delay_alu instid0(VALU_DEP_4)
	v_add_co_ci_u32_e32 v7, vcc_lo, s7, v10, vcc_lo
	s_waitcnt lgkmcnt(0)
	s_sub_u32 s6, s0, s9
	s_subb_u32 s7, 0, 0
	s_mov_b64 s[0:1], 1
	s_set_inst_prefetch_distance 0x1
	.p2align	6
.LBB6_3:                                ; =>This Inner Loop Header: Depth=1
	global_load_b64 v[9:10], v[4:5], off
	global_load_b32 v15, v[6:7], off
	v_add_co_u32 v4, vcc_lo, v4, 8
	v_ashrrev_i32_e32 v2, 31, v1
	v_add_nc_u32_e32 v11, s0, v3
	v_add_co_ci_u32_e32 v5, vcc_lo, 0, v5, vcc_lo
	v_add_co_u32 v6, vcc_lo, v6, 4
	v_add_co_ci_u32_e32 v7, vcc_lo, 0, v7, vcc_lo
	v_cmp_ge_i64_e64 s9, s[0:1], s[12:13]
	v_cmp_ge_i32_e32 vcc_lo, v11, v8
	v_lshlrev_b64 v[11:12], 3, v[1:2]
	v_lshlrev_b64 v[13:14], 2, v[1:2]
	v_add_nc_u32_e32 v1, s4, v1
	s_or_b32 s9, vcc_lo, s9
	s_add_u32 s0, s0, 1
	s_delay_alu instid0(VALU_DEP_3)
	v_add_co_u32 v11, vcc_lo, s14, v11
	v_add_co_ci_u32_e32 v12, vcc_lo, s15, v12, vcc_lo
	v_add_co_u32 v13, vcc_lo, s2, v13
	v_add_co_ci_u32_e32 v14, vcc_lo, s3, v14, vcc_lo
	s_addc_u32 s1, s1, 0
	s_and_b32 s9, exec_lo, s9
	s_delay_alu instid0(SALU_CYCLE_1)
	s_or_b32 s8, s9, s8
	s_waitcnt vmcnt(1)
	v_add_co_u32 v9, vcc_lo, s6, v9
	v_add_co_ci_u32_e32 v10, vcc_lo, s7, v10, vcc_lo
	s_waitcnt vmcnt(0)
	global_store_b32 v[13:14], v15, off
	global_store_b64 v[11:12], v[9:10], off
	s_and_not1_b32 exec_lo, exec_lo, s8
	s_cbranch_execnz .LBB6_3
.LBB6_4:
	s_set_inst_prefetch_distance 0x2
	s_or_b32 exec_lo, exec_lo, s5
	v_sub_nc_u32_e32 v1, v8, v3
	s_delay_alu instid0(VALU_DEP_1) | instskip(NEXT) | instid1(VALU_DEP_1)
	v_ashrrev_i32_e32 v2, 31, v1
	v_cmp_gt_i64_e32 vcc_lo, s[12:13], v[1:2]
	s_and_b32 exec_lo, exec_lo, vcc_lo
	s_cbranch_execz .LBB6_7
; %bb.5:
	v_mul_lo_u32 v5, v1, s4
	v_mov_b32_e32 v3, -1
	s_mov_b32 s1, 0
	s_delay_alu instid0(VALU_DEP_2) | instskip(SKIP_1) | instid1(VALU_DEP_3)
	v_add3_u32 v5, v0, v5, s16
	v_mov_b32_e32 v0, 0
	v_mov_b32_e32 v4, v3
	.p2align	6
.LBB6_6:                                ; =>This Inner Loop Header: Depth=1
	s_delay_alu instid0(VALU_DEP_3) | instskip(SKIP_2) | instid1(VALU_DEP_3)
	v_ashrrev_i32_e32 v6, 31, v5
	v_add_co_u32 v1, vcc_lo, v1, 1
	v_add_co_ci_u32_e32 v2, vcc_lo, 0, v2, vcc_lo
	v_lshlrev_b64 v[7:8], 3, v[5:6]
	v_lshlrev_b64 v[9:10], 2, v[5:6]
	v_add_nc_u32_e32 v5, s4, v5
	s_delay_alu instid0(VALU_DEP_4) | instskip(NEXT) | instid1(VALU_DEP_4)
	v_cmp_le_i64_e32 vcc_lo, s[12:13], v[1:2]
	v_add_co_u32 v6, s0, s14, v7
	s_delay_alu instid0(VALU_DEP_1) | instskip(SKIP_1) | instid1(VALU_DEP_1)
	v_add_co_ci_u32_e64 v7, s0, s15, v8, s0
	v_add_co_u32 v8, s0, s2, v9
	v_add_co_ci_u32_e64 v9, s0, s3, v10, s0
	s_or_b32 s1, vcc_lo, s1
	global_store_b64 v[6:7], v[3:4], off
	global_store_b32 v[8:9], v0, off
	s_and_not1_b32 exec_lo, exec_lo, s1
	s_cbranch_execnz .LBB6_6
.LBB6_7:
	s_nop 0
	s_sendmsg sendmsg(MSG_DEALLOC_VGPRS)
	s_endpgm
	.section	.rodata,"a",@progbits
	.p2align	6, 0x0
	.amdhsa_kernel _ZN9rocsparseL14csr2ell_kernelILj512EfilEEvT2_PKT0_PKT1_PKS1_21rocsparse_index_base_S1_PS1_PS2_SA_
		.amdhsa_group_segment_fixed_size 0
		.amdhsa_private_segment_fixed_size 0
		.amdhsa_kernarg_size 68
		.amdhsa_user_sgpr_count 15
		.amdhsa_user_sgpr_dispatch_ptr 0
		.amdhsa_user_sgpr_queue_ptr 0
		.amdhsa_user_sgpr_kernarg_segment_ptr 1
		.amdhsa_user_sgpr_dispatch_id 0
		.amdhsa_user_sgpr_private_segment_size 0
		.amdhsa_wavefront_size32 1
		.amdhsa_uses_dynamic_stack 0
		.amdhsa_enable_private_segment 0
		.amdhsa_system_sgpr_workgroup_id_x 1
		.amdhsa_system_sgpr_workgroup_id_y 0
		.amdhsa_system_sgpr_workgroup_id_z 0
		.amdhsa_system_sgpr_workgroup_info 0
		.amdhsa_system_vgpr_workitem_id 0
		.amdhsa_next_free_vgpr 16
		.amdhsa_next_free_sgpr 17
		.amdhsa_reserve_vcc 1
		.amdhsa_float_round_mode_32 0
		.amdhsa_float_round_mode_16_64 0
		.amdhsa_float_denorm_mode_32 3
		.amdhsa_float_denorm_mode_16_64 3
		.amdhsa_dx10_clamp 1
		.amdhsa_ieee_mode 1
		.amdhsa_fp16_overflow 0
		.amdhsa_workgroup_processor_mode 1
		.amdhsa_memory_ordered 1
		.amdhsa_forward_progress 0
		.amdhsa_shared_vgpr_count 0
		.amdhsa_exception_fp_ieee_invalid_op 0
		.amdhsa_exception_fp_denorm_src 0
		.amdhsa_exception_fp_ieee_div_zero 0
		.amdhsa_exception_fp_ieee_overflow 0
		.amdhsa_exception_fp_ieee_underflow 0
		.amdhsa_exception_fp_ieee_inexact 0
		.amdhsa_exception_int_div_zero 0
	.end_amdhsa_kernel
	.section	.text._ZN9rocsparseL14csr2ell_kernelILj512EfilEEvT2_PKT0_PKT1_PKS1_21rocsparse_index_base_S1_PS1_PS2_SA_,"axG",@progbits,_ZN9rocsparseL14csr2ell_kernelILj512EfilEEvT2_PKT0_PKT1_PKS1_21rocsparse_index_base_S1_PS1_PS2_SA_,comdat
.Lfunc_end6:
	.size	_ZN9rocsparseL14csr2ell_kernelILj512EfilEEvT2_PKT0_PKT1_PKS1_21rocsparse_index_base_S1_PS1_PS2_SA_, .Lfunc_end6-_ZN9rocsparseL14csr2ell_kernelILj512EfilEEvT2_PKT0_PKT1_PKS1_21rocsparse_index_base_S1_PS1_PS2_SA_
                                        ; -- End function
	.section	.AMDGPU.csdata,"",@progbits
; Kernel info:
; codeLenInByte = 604
; NumSgprs: 19
; NumVgprs: 16
; ScratchSize: 0
; MemoryBound: 0
; FloatMode: 240
; IeeeMode: 1
; LDSByteSize: 0 bytes/workgroup (compile time only)
; SGPRBlocks: 2
; VGPRBlocks: 1
; NumSGPRsForWavesPerEU: 19
; NumVGPRsForWavesPerEU: 16
; Occupancy: 16
; WaveLimiterHint : 0
; COMPUTE_PGM_RSRC2:SCRATCH_EN: 0
; COMPUTE_PGM_RSRC2:USER_SGPR: 15
; COMPUTE_PGM_RSRC2:TRAP_HANDLER: 0
; COMPUTE_PGM_RSRC2:TGID_X_EN: 1
; COMPUTE_PGM_RSRC2:TGID_Y_EN: 0
; COMPUTE_PGM_RSRC2:TGID_Z_EN: 0
; COMPUTE_PGM_RSRC2:TIDIG_COMP_CNT: 0
	.section	.text._ZN9rocsparseL14csr2ell_kernelILj512EfllEEvT2_PKT0_PKT1_PKS1_21rocsparse_index_base_S1_PS1_PS2_SA_,"axG",@progbits,_ZN9rocsparseL14csr2ell_kernelILj512EfllEEvT2_PKT0_PKT1_PKS1_21rocsparse_index_base_S1_PS1_PS2_SA_,comdat
	.globl	_ZN9rocsparseL14csr2ell_kernelILj512EfllEEvT2_PKT0_PKT1_PKS1_21rocsparse_index_base_S1_PS1_PS2_SA_ ; -- Begin function _ZN9rocsparseL14csr2ell_kernelILj512EfllEEvT2_PKT0_PKT1_PKS1_21rocsparse_index_base_S1_PS1_PS2_SA_
	.p2align	8
	.type	_ZN9rocsparseL14csr2ell_kernelILj512EfllEEvT2_PKT0_PKT1_PKS1_21rocsparse_index_base_S1_PS1_PS2_SA_,@function
_ZN9rocsparseL14csr2ell_kernelILj512EfllEEvT2_PKT0_PKT1_PKS1_21rocsparse_index_base_S1_PS1_PS2_SA_: ; @_ZN9rocsparseL14csr2ell_kernelILj512EfllEEvT2_PKT0_PKT1_PKS1_21rocsparse_index_base_S1_PS1_PS2_SA_
; %bb.0:
	s_load_b256 s[4:11], s[0:1], 0x0
	v_lshl_or_b32 v4, s15, 9, v0
	v_mov_b32_e32 v5, 0
	s_mov_b32 s2, exec_lo
	s_waitcnt lgkmcnt(0)
	s_delay_alu instid0(VALU_DEP_1)
	v_cmpx_gt_i64_e64 s[4:5], v[4:5]
	s_cbranch_execz .LBB7_7
; %bb.1:
	v_lshlrev_b64 v[6:7], 3, v[4:5]
	s_mov_b32 s16, 0
	s_delay_alu instid0(VALU_DEP_1) | instskip(NEXT) | instid1(VALU_DEP_2)
	v_add_co_u32 v0, vcc_lo, s8, v6
	v_add_co_ci_u32_e32 v1, vcc_lo, s9, v7, vcc_lo
	global_load_b128 v[0:3], v[0:1], off
	s_clause 0x2
	s_load_b32 s8, s[0:1], 0x20
	s_load_b128 s[12:15], s[0:1], 0x28
	s_load_b64 s[2:3], s[0:1], 0x38
	s_waitcnt lgkmcnt(0)
	v_cmp_gt_i64_e64 s9, s[12:13], 0
	s_waitcnt vmcnt(0)
	v_sub_co_u32 v8, vcc_lo, v0, s8
	v_subrev_co_ci_u32_e32 v14, vcc_lo, 0, v1, vcc_lo
	v_sub_co_u32 v1, vcc_lo, v2, s8
	v_subrev_co_ci_u32_e32 v2, vcc_lo, 0, v3, vcc_lo
	s_delay_alu instid0(VALU_DEP_4) | instskip(NEXT) | instid1(VALU_DEP_1)
	v_ashrrev_i32_e32 v9, 31, v8
	v_cmp_gt_i64_e32 vcc_lo, v[1:2], v[8:9]
	s_and_b32 s9, s9, vcc_lo
	s_delay_alu instid0(SALU_CYCLE_1)
	s_and_saveexec_b32 s17, s9
	s_cbranch_execz .LBB7_4
; %bb.2:
	s_load_b32 s0, s[0:1], 0x40
	v_subrev_nc_u32_e32 v0, s8, v0
	v_dual_mov_b32 v10, v4 :: v_dual_mov_b32 v13, v9
	v_mov_b32_e32 v12, v8
	s_delay_alu instid0(VALU_DEP_3) | instskip(NEXT) | instid1(VALU_DEP_1)
	v_dual_mov_b32 v9, v8 :: v_dual_add_nc_u32 v0, 1, v0
	v_ashrrev_i32_e32 v3, 31, v0
	s_waitcnt lgkmcnt(0)
	s_sub_u32 s1, s0, s8
	s_subb_u32 s18, 0, 0
	s_mov_b64 s[8:9], 1
.LBB7_3:                                ; =>This Inner Loop Header: Depth=1
	v_lshlrev_b64 v[15:16], 3, v[12:13]
	v_lshlrev_b64 v[11:12], 2, v[12:13]
	v_cmp_ge_i64_e64 s19, s[8:9], s[12:13]
	s_delay_alu instid0(VALU_DEP_3) | instskip(NEXT) | instid1(VALU_DEP_4)
	v_add_co_u32 v15, vcc_lo, s10, v15
	v_add_co_ci_u32_e32 v16, vcc_lo, s11, v16, vcc_lo
	s_delay_alu instid0(VALU_DEP_4)
	v_add_co_u32 v11, vcc_lo, s6, v11
	v_add_co_ci_u32_e32 v12, vcc_lo, s7, v12, vcc_lo
	global_load_b64 v[15:16], v[15:16], off
	global_load_b32 v23, v[11:12], off
	v_add_nc_u32_e32 v12, 1, v9
	v_add_co_u32 v9, vcc_lo, v0, s8
	v_ashrrev_i32_e32 v11, 31, v10
	v_add_co_ci_u32_e32 v13, vcc_lo, s9, v3, vcc_lo
	s_delay_alu instid0(VALU_DEP_3) | instskip(NEXT) | instid1(VALU_DEP_3)
	v_add_co_u32 v19, vcc_lo, v9, -1
	v_lshlrev_b64 v[17:18], 3, v[10:11]
	s_delay_alu instid0(VALU_DEP_3) | instskip(SKIP_3) | instid1(VALU_DEP_4)
	v_add_co_ci_u32_e32 v20, vcc_lo, -1, v13, vcc_lo
	v_lshlrev_b64 v[21:22], 2, v[10:11]
	v_ashrrev_i32_e32 v13, 31, v12
	v_dual_mov_b32 v9, v12 :: v_dual_add_nc_u32 v10, s4, v10
	v_cmp_le_i64_e32 vcc_lo, v[1:2], v[19:20]
	v_add_co_u32 v17, s0, s14, v17
	s_delay_alu instid0(VALU_DEP_1) | instskip(SKIP_1) | instid1(VALU_DEP_1)
	v_add_co_ci_u32_e64 v18, s0, s15, v18, s0
	v_add_co_u32 v19, s0, s2, v21
	v_add_co_ci_u32_e64 v20, s0, s3, v22, s0
	s_or_b32 s0, vcc_lo, s19
	s_add_u32 s8, s8, 1
	s_addc_u32 s9, s9, 0
	s_and_b32 s0, exec_lo, s0
	s_delay_alu instid0(SALU_CYCLE_1)
	s_or_b32 s16, s0, s16
	s_waitcnt vmcnt(1)
	v_add_co_u32 v15, vcc_lo, s1, v15
	v_add_co_ci_u32_e32 v16, vcc_lo, s18, v16, vcc_lo
	s_waitcnt vmcnt(0)
	global_store_b32 v[19:20], v23, off
	global_store_b64 v[17:18], v[15:16], off
	s_and_not1_b32 exec_lo, exec_lo, s16
	s_cbranch_execnz .LBB7_3
.LBB7_4:
	s_or_b32 exec_lo, exec_lo, s17
	v_sub_co_u32 v0, vcc_lo, v1, v8
	v_sub_co_ci_u32_e32 v1, vcc_lo, v2, v14, vcc_lo
	s_delay_alu instid0(VALU_DEP_1)
	v_cmp_gt_i64_e32 vcc_lo, s[12:13], v[0:1]
	s_and_b32 exec_lo, exec_lo, vcc_lo
	s_cbranch_execz .LBB7_7
; %bb.5:
	v_mul_lo_u32 v2, s5, v0
	v_mul_lo_u32 v3, s4, v1
	v_mad_u64_u32 v[8:9], null, s4, v0, 0
	s_mov_b32 s1, 0
	s_delay_alu instid0(VALU_DEP_1) | instskip(SKIP_2) | instid1(VALU_DEP_3)
	v_add3_u32 v9, v9, v3, v2
	v_lshlrev_b64 v[3:4], 2, v[4:5]
	v_mov_b32_e32 v2, -1
	v_lshlrev_b64 v[10:11], 3, v[8:9]
	v_lshlrev_b64 v[8:9], 2, v[8:9]
	s_delay_alu instid0(VALU_DEP_2) | instskip(NEXT) | instid1(VALU_DEP_3)
	v_add_co_u32 v5, vcc_lo, v10, v6
	v_add_co_ci_u32_e32 v6, vcc_lo, v11, v7, vcc_lo
	s_delay_alu instid0(VALU_DEP_3) | instskip(NEXT) | instid1(VALU_DEP_4)
	v_add_co_u32 v3, vcc_lo, v8, v3
	v_add_co_ci_u32_e32 v7, vcc_lo, v9, v4, vcc_lo
	s_delay_alu instid0(VALU_DEP_4) | instskip(NEXT) | instid1(VALU_DEP_4)
	v_add_co_u32 v4, vcc_lo, s14, v5
	v_add_co_ci_u32_e32 v5, vcc_lo, s15, v6, vcc_lo
	s_delay_alu instid0(VALU_DEP_4) | instskip(NEXT) | instid1(VALU_DEP_4)
	v_add_co_u32 v6, vcc_lo, s2, v3
	v_add_co_ci_u32_e32 v7, vcc_lo, s3, v7, vcc_lo
	v_dual_mov_b32 v3, v2 :: v_dual_mov_b32 v8, 0
	s_lshl_b64 s[2:3], s[4:5], 3
	s_lshl_b64 s[4:5], s[4:5], 2
	.p2align	6
.LBB7_6:                                ; =>This Inner Loop Header: Depth=1
	v_add_co_u32 v0, vcc_lo, v0, 1
	v_add_co_ci_u32_e32 v1, vcc_lo, 0, v1, vcc_lo
	global_store_b64 v[4:5], v[2:3], off
	global_store_b32 v[6:7], v8, off
	v_add_co_u32 v4, vcc_lo, v4, s2
	v_add_co_ci_u32_e32 v5, vcc_lo, s3, v5, vcc_lo
	v_cmp_le_i64_e32 vcc_lo, s[12:13], v[0:1]
	v_add_co_u32 v6, s0, v6, s4
	s_delay_alu instid0(VALU_DEP_1) | instskip(SKIP_1) | instid1(SALU_CYCLE_1)
	v_add_co_ci_u32_e64 v7, s0, s5, v7, s0
	s_or_b32 s1, vcc_lo, s1
	s_and_not1_b32 exec_lo, exec_lo, s1
	s_cbranch_execnz .LBB7_6
.LBB7_7:
	s_nop 0
	s_sendmsg sendmsg(MSG_DEALLOC_VGPRS)
	s_endpgm
	.section	.rodata,"a",@progbits
	.p2align	6, 0x0
	.amdhsa_kernel _ZN9rocsparseL14csr2ell_kernelILj512EfllEEvT2_PKT0_PKT1_PKS1_21rocsparse_index_base_S1_PS1_PS2_SA_
		.amdhsa_group_segment_fixed_size 0
		.amdhsa_private_segment_fixed_size 0
		.amdhsa_kernarg_size 68
		.amdhsa_user_sgpr_count 15
		.amdhsa_user_sgpr_dispatch_ptr 0
		.amdhsa_user_sgpr_queue_ptr 0
		.amdhsa_user_sgpr_kernarg_segment_ptr 1
		.amdhsa_user_sgpr_dispatch_id 0
		.amdhsa_user_sgpr_private_segment_size 0
		.amdhsa_wavefront_size32 1
		.amdhsa_uses_dynamic_stack 0
		.amdhsa_enable_private_segment 0
		.amdhsa_system_sgpr_workgroup_id_x 1
		.amdhsa_system_sgpr_workgroup_id_y 0
		.amdhsa_system_sgpr_workgroup_id_z 0
		.amdhsa_system_sgpr_workgroup_info 0
		.amdhsa_system_vgpr_workitem_id 0
		.amdhsa_next_free_vgpr 24
		.amdhsa_next_free_sgpr 20
		.amdhsa_reserve_vcc 1
		.amdhsa_float_round_mode_32 0
		.amdhsa_float_round_mode_16_64 0
		.amdhsa_float_denorm_mode_32 3
		.amdhsa_float_denorm_mode_16_64 3
		.amdhsa_dx10_clamp 1
		.amdhsa_ieee_mode 1
		.amdhsa_fp16_overflow 0
		.amdhsa_workgroup_processor_mode 1
		.amdhsa_memory_ordered 1
		.amdhsa_forward_progress 0
		.amdhsa_shared_vgpr_count 0
		.amdhsa_exception_fp_ieee_invalid_op 0
		.amdhsa_exception_fp_denorm_src 0
		.amdhsa_exception_fp_ieee_div_zero 0
		.amdhsa_exception_fp_ieee_overflow 0
		.amdhsa_exception_fp_ieee_underflow 0
		.amdhsa_exception_fp_ieee_inexact 0
		.amdhsa_exception_int_div_zero 0
	.end_amdhsa_kernel
	.section	.text._ZN9rocsparseL14csr2ell_kernelILj512EfllEEvT2_PKT0_PKT1_PKS1_21rocsparse_index_base_S1_PS1_PS2_SA_,"axG",@progbits,_ZN9rocsparseL14csr2ell_kernelILj512EfllEEvT2_PKT0_PKT1_PKS1_21rocsparse_index_base_S1_PS1_PS2_SA_,comdat
.Lfunc_end7:
	.size	_ZN9rocsparseL14csr2ell_kernelILj512EfllEEvT2_PKT0_PKT1_PKS1_21rocsparse_index_base_S1_PS1_PS2_SA_, .Lfunc_end7-_ZN9rocsparseL14csr2ell_kernelILj512EfllEEvT2_PKT0_PKT1_PKS1_21rocsparse_index_base_S1_PS1_PS2_SA_
                                        ; -- End function
	.section	.AMDGPU.csdata,"",@progbits
; Kernel info:
; codeLenInByte = 748
; NumSgprs: 22
; NumVgprs: 24
; ScratchSize: 0
; MemoryBound: 0
; FloatMode: 240
; IeeeMode: 1
; LDSByteSize: 0 bytes/workgroup (compile time only)
; SGPRBlocks: 2
; VGPRBlocks: 2
; NumSGPRsForWavesPerEU: 22
; NumVGPRsForWavesPerEU: 24
; Occupancy: 16
; WaveLimiterHint : 0
; COMPUTE_PGM_RSRC2:SCRATCH_EN: 0
; COMPUTE_PGM_RSRC2:USER_SGPR: 15
; COMPUTE_PGM_RSRC2:TRAP_HANDLER: 0
; COMPUTE_PGM_RSRC2:TGID_X_EN: 1
; COMPUTE_PGM_RSRC2:TGID_Y_EN: 0
; COMPUTE_PGM_RSRC2:TGID_Z_EN: 0
; COMPUTE_PGM_RSRC2:TIDIG_COMP_CNT: 0
	.section	.text._ZN9rocsparseL14csr2ell_kernelILj512EdiiEEvT2_PKT0_PKT1_PKS1_21rocsparse_index_base_S1_PS1_PS2_SA_,"axG",@progbits,_ZN9rocsparseL14csr2ell_kernelILj512EdiiEEvT2_PKT0_PKT1_PKS1_21rocsparse_index_base_S1_PS1_PS2_SA_,comdat
	.globl	_ZN9rocsparseL14csr2ell_kernelILj512EdiiEEvT2_PKT0_PKT1_PKS1_21rocsparse_index_base_S1_PS1_PS2_SA_ ; -- Begin function _ZN9rocsparseL14csr2ell_kernelILj512EdiiEEvT2_PKT0_PKT1_PKS1_21rocsparse_index_base_S1_PS1_PS2_SA_
	.p2align	8
	.type	_ZN9rocsparseL14csr2ell_kernelILj512EdiiEEvT2_PKT0_PKT1_PKS1_21rocsparse_index_base_S1_PS1_PS2_SA_,@function
_ZN9rocsparseL14csr2ell_kernelILj512EdiiEEvT2_PKT0_PKT1_PKS1_21rocsparse_index_base_S1_PS1_PS2_SA_: ; @_ZN9rocsparseL14csr2ell_kernelILj512EdiiEEvT2_PKT0_PKT1_PKS1_21rocsparse_index_base_S1_PS1_PS2_SA_
; %bb.0:
	s_load_b32 s12, s[0:1], 0x0
	s_lshl_b32 s13, s15, 9
	s_mov_b32 s2, exec_lo
	v_or_b32_e32 v1, s13, v0
	s_waitcnt lgkmcnt(0)
	s_delay_alu instid0(VALU_DEP_1)
	v_cmpx_gt_i32_e64 s12, v1
	s_cbranch_execz .LBB8_7
; %bb.1:
	s_clause 0x1
	s_load_b128 s[8:11], s[0:1], 0x8
	s_load_b64 s[2:3], s[0:1], 0x20
	v_ashrrev_i32_e32 v2, 31, v1
	s_load_b128 s[4:7], s[0:1], 0x28
	s_delay_alu instid0(VALU_DEP_1) | instskip(SKIP_1) | instid1(VALU_DEP_1)
	v_lshlrev_b64 v[2:3], 2, v[1:2]
	s_waitcnt lgkmcnt(0)
	v_add_co_u32 v2, vcc_lo, s10, v2
	s_delay_alu instid0(VALU_DEP_2)
	v_add_co_ci_u32_e32 v3, vcc_lo, s11, v3, vcc_lo
	s_cmp_gt_i32 s3, 0
	s_mov_b32 s10, 0
	s_cselect_b32 s11, -1, 0
	global_load_b64 v[4:5], v[2:3], off
	s_waitcnt vmcnt(0)
	v_cmp_lt_i32_e32 vcc_lo, v4, v5
	v_subrev_nc_u32_e32 v3, s2, v4
	v_subrev_nc_u32_e32 v8, s2, v5
	s_and_b32 s14, s11, vcc_lo
	s_delay_alu instid0(SALU_CYCLE_1)
	s_and_saveexec_b32 s11, s14
	s_cbranch_execz .LBB8_4
; %bb.2:
	s_clause 0x1
	s_load_b64 s[14:15], s[0:1], 0x18
	s_load_b32 s0, s[0:1], 0x38
	v_ashrrev_i32_e32 v4, 31, v3
	s_mov_b32 s1, 1
	s_delay_alu instid0(VALU_DEP_1) | instskip(SKIP_2) | instid1(VALU_DEP_2)
	v_lshlrev_b64 v[5:6], 2, v[3:4]
	v_lshlrev_b64 v[9:10], 3, v[3:4]
	s_waitcnt lgkmcnt(0)
	v_add_co_u32 v4, vcc_lo, s14, v5
	s_delay_alu instid0(VALU_DEP_3) | instskip(NEXT) | instid1(VALU_DEP_3)
	v_add_co_ci_u32_e32 v5, vcc_lo, s15, v6, vcc_lo
	v_add_co_u32 v6, vcc_lo, s8, v9
	s_delay_alu instid0(VALU_DEP_4)
	v_add_co_ci_u32_e32 v7, vcc_lo, s9, v10, vcc_lo
	s_sub_i32 s0, s0, s2
	s_set_inst_prefetch_distance 0x1
	.p2align	6
.LBB8_3:                                ; =>This Inner Loop Header: Depth=1
	global_load_b32 v15, v[4:5], off
	global_load_b64 v[9:10], v[6:7], off
	v_add_co_u32 v4, vcc_lo, v4, 4
	v_ashrrev_i32_e32 v2, 31, v1
	v_add_nc_u32_e32 v11, s1, v3
	v_add_co_ci_u32_e32 v5, vcc_lo, 0, v5, vcc_lo
	v_add_co_u32 v6, vcc_lo, v6, 8
	v_add_co_ci_u32_e32 v7, vcc_lo, 0, v7, vcc_lo
	s_delay_alu instid0(VALU_DEP_4)
	v_cmp_ge_i32_e32 vcc_lo, v11, v8
	v_lshlrev_b64 v[11:12], 2, v[1:2]
	s_cmp_ge_i32 s1, s3
	v_lshlrev_b64 v[13:14], 3, v[1:2]
	s_cselect_b32 s2, -1, 0
	s_add_i32 s1, s1, 1
	s_or_b32 s2, vcc_lo, s2
	v_add_co_u32 v11, vcc_lo, s4, v11
	v_add_co_ci_u32_e32 v12, vcc_lo, s5, v12, vcc_lo
	v_add_co_u32 v13, vcc_lo, s6, v13
	v_add_nc_u32_e32 v1, s12, v1
	v_add_co_ci_u32_e32 v14, vcc_lo, s7, v14, vcc_lo
	s_and_b32 s2, exec_lo, s2
	s_delay_alu instid0(SALU_CYCLE_1)
	s_or_b32 s10, s2, s10
	s_waitcnt vmcnt(1)
	v_add_nc_u32_e32 v2, s0, v15
	s_waitcnt vmcnt(0)
	global_store_b64 v[13:14], v[9:10], off
	global_store_b32 v[11:12], v2, off
	s_and_not1_b32 exec_lo, exec_lo, s10
	s_cbranch_execnz .LBB8_3
.LBB8_4:
	s_set_inst_prefetch_distance 0x2
	s_or_b32 exec_lo, exec_lo, s11
	v_sub_nc_u32_e32 v5, v8, v3
	s_delay_alu instid0(VALU_DEP_1)
	v_cmp_gt_i32_e32 vcc_lo, s3, v5
	s_and_b32 exec_lo, exec_lo, vcc_lo
	s_cbranch_execz .LBB8_7
; %bb.5:
	v_mul_lo_u32 v2, s12, v5
	v_dual_mov_b32 v1, 0 :: v_dual_mov_b32 v6, -1
	s_mov_b32 s1, 0
	s_delay_alu instid0(VALU_DEP_2) | instskip(NEXT) | instid1(VALU_DEP_2)
	v_add3_u32 v3, v0, v2, s13
	v_mov_b32_e32 v2, v1
	.p2align	6
.LBB8_6:                                ; =>This Inner Loop Header: Depth=1
	s_delay_alu instid0(VALU_DEP_2) | instskip(SKIP_1) | instid1(VALU_DEP_2)
	v_ashrrev_i32_e32 v4, 31, v3
	v_add_nc_u32_e32 v5, 1, v5
	v_lshlrev_b64 v[7:8], 2, v[3:4]
	v_lshlrev_b64 v[9:10], 3, v[3:4]
	s_delay_alu instid0(VALU_DEP_3) | instskip(SKIP_1) | instid1(VALU_DEP_4)
	v_cmp_le_i32_e32 vcc_lo, s3, v5
	v_add_nc_u32_e32 v3, s12, v3
	v_add_co_u32 v7, s0, s4, v7
	s_delay_alu instid0(VALU_DEP_1) | instskip(SKIP_1) | instid1(VALU_DEP_1)
	v_add_co_ci_u32_e64 v8, s0, s5, v8, s0
	v_add_co_u32 v9, s0, s6, v9
	v_add_co_ci_u32_e64 v10, s0, s7, v10, s0
	s_or_b32 s1, vcc_lo, s1
	global_store_b32 v[7:8], v6, off
	global_store_b64 v[9:10], v[1:2], off
	s_and_not1_b32 exec_lo, exec_lo, s1
	s_cbranch_execnz .LBB8_6
.LBB8_7:
	s_nop 0
	s_sendmsg sendmsg(MSG_DEALLOC_VGPRS)
	s_endpgm
	.section	.rodata,"a",@progbits
	.p2align	6, 0x0
	.amdhsa_kernel _ZN9rocsparseL14csr2ell_kernelILj512EdiiEEvT2_PKT0_PKT1_PKS1_21rocsparse_index_base_S1_PS1_PS2_SA_
		.amdhsa_group_segment_fixed_size 0
		.amdhsa_private_segment_fixed_size 0
		.amdhsa_kernarg_size 60
		.amdhsa_user_sgpr_count 15
		.amdhsa_user_sgpr_dispatch_ptr 0
		.amdhsa_user_sgpr_queue_ptr 0
		.amdhsa_user_sgpr_kernarg_segment_ptr 1
		.amdhsa_user_sgpr_dispatch_id 0
		.amdhsa_user_sgpr_private_segment_size 0
		.amdhsa_wavefront_size32 1
		.amdhsa_uses_dynamic_stack 0
		.amdhsa_enable_private_segment 0
		.amdhsa_system_sgpr_workgroup_id_x 1
		.amdhsa_system_sgpr_workgroup_id_y 0
		.amdhsa_system_sgpr_workgroup_id_z 0
		.amdhsa_system_sgpr_workgroup_info 0
		.amdhsa_system_vgpr_workitem_id 0
		.amdhsa_next_free_vgpr 16
		.amdhsa_next_free_sgpr 16
		.amdhsa_reserve_vcc 1
		.amdhsa_float_round_mode_32 0
		.amdhsa_float_round_mode_16_64 0
		.amdhsa_float_denorm_mode_32 3
		.amdhsa_float_denorm_mode_16_64 3
		.amdhsa_dx10_clamp 1
		.amdhsa_ieee_mode 1
		.amdhsa_fp16_overflow 0
		.amdhsa_workgroup_processor_mode 1
		.amdhsa_memory_ordered 1
		.amdhsa_forward_progress 0
		.amdhsa_shared_vgpr_count 0
		.amdhsa_exception_fp_ieee_invalid_op 0
		.amdhsa_exception_fp_denorm_src 0
		.amdhsa_exception_fp_ieee_div_zero 0
		.amdhsa_exception_fp_ieee_overflow 0
		.amdhsa_exception_fp_ieee_underflow 0
		.amdhsa_exception_fp_ieee_inexact 0
		.amdhsa_exception_int_div_zero 0
	.end_amdhsa_kernel
	.section	.text._ZN9rocsparseL14csr2ell_kernelILj512EdiiEEvT2_PKT0_PKT1_PKS1_21rocsparse_index_base_S1_PS1_PS2_SA_,"axG",@progbits,_ZN9rocsparseL14csr2ell_kernelILj512EdiiEEvT2_PKT0_PKT1_PKS1_21rocsparse_index_base_S1_PS1_PS2_SA_,comdat
.Lfunc_end8:
	.size	_ZN9rocsparseL14csr2ell_kernelILj512EdiiEEvT2_PKT0_PKT1_PKS1_21rocsparse_index_base_S1_PS1_PS2_SA_, .Lfunc_end8-_ZN9rocsparseL14csr2ell_kernelILj512EdiiEEvT2_PKT0_PKT1_PKS1_21rocsparse_index_base_S1_PS1_PS2_SA_
                                        ; -- End function
	.section	.AMDGPU.csdata,"",@progbits
; Kernel info:
; codeLenInByte = 592
; NumSgprs: 18
; NumVgprs: 16
; ScratchSize: 0
; MemoryBound: 0
; FloatMode: 240
; IeeeMode: 1
; LDSByteSize: 0 bytes/workgroup (compile time only)
; SGPRBlocks: 2
; VGPRBlocks: 1
; NumSGPRsForWavesPerEU: 18
; NumVGPRsForWavesPerEU: 16
; Occupancy: 16
; WaveLimiterHint : 0
; COMPUTE_PGM_RSRC2:SCRATCH_EN: 0
; COMPUTE_PGM_RSRC2:USER_SGPR: 15
; COMPUTE_PGM_RSRC2:TRAP_HANDLER: 0
; COMPUTE_PGM_RSRC2:TGID_X_EN: 1
; COMPUTE_PGM_RSRC2:TGID_Y_EN: 0
; COMPUTE_PGM_RSRC2:TGID_Z_EN: 0
; COMPUTE_PGM_RSRC2:TIDIG_COMP_CNT: 0
	.section	.text._ZN9rocsparseL14csr2ell_kernelILj512EdliEEvT2_PKT0_PKT1_PKS1_21rocsparse_index_base_S1_PS1_PS2_SA_,"axG",@progbits,_ZN9rocsparseL14csr2ell_kernelILj512EdliEEvT2_PKT0_PKT1_PKS1_21rocsparse_index_base_S1_PS1_PS2_SA_,comdat
	.globl	_ZN9rocsparseL14csr2ell_kernelILj512EdliEEvT2_PKT0_PKT1_PKS1_21rocsparse_index_base_S1_PS1_PS2_SA_ ; -- Begin function _ZN9rocsparseL14csr2ell_kernelILj512EdliEEvT2_PKT0_PKT1_PKS1_21rocsparse_index_base_S1_PS1_PS2_SA_
	.p2align	8
	.type	_ZN9rocsparseL14csr2ell_kernelILj512EdliEEvT2_PKT0_PKT1_PKS1_21rocsparse_index_base_S1_PS1_PS2_SA_,@function
_ZN9rocsparseL14csr2ell_kernelILj512EdliEEvT2_PKT0_PKT1_PKS1_21rocsparse_index_base_S1_PS1_PS2_SA_: ; @_ZN9rocsparseL14csr2ell_kernelILj512EdliEEvT2_PKT0_PKT1_PKS1_21rocsparse_index_base_S1_PS1_PS2_SA_
; %bb.0:
	s_load_b32 s12, s[0:1], 0x0
	s_lshl_b32 s13, s15, 9
	s_mov_b32 s2, exec_lo
	v_or_b32_e32 v5, s13, v0
	s_waitcnt lgkmcnt(0)
	s_delay_alu instid0(VALU_DEP_1)
	v_cmpx_gt_i32_e64 s12, v5
	s_cbranch_execz .LBB9_7
; %bb.1:
	s_clause 0x1
	s_load_b128 s[8:11], s[0:1], 0x8
	s_load_b64 s[2:3], s[0:1], 0x20
	v_ashrrev_i32_e32 v6, 31, v5
	s_load_b128 s[4:7], s[0:1], 0x28
	s_mov_b32 s14, 0
	s_delay_alu instid0(VALU_DEP_1) | instskip(SKIP_1) | instid1(VALU_DEP_1)
	v_lshlrev_b64 v[1:2], 3, v[5:6]
	s_waitcnt lgkmcnt(0)
	v_add_co_u32 v1, vcc_lo, s10, v1
	s_delay_alu instid0(VALU_DEP_2)
	v_add_co_ci_u32_e32 v2, vcc_lo, s11, v2, vcc_lo
	s_cmp_gt_i32 s3, 0
	s_cselect_b32 s10, -1, 0
	global_load_b128 v[1:4], v[1:2], off
	s_waitcnt vmcnt(0)
	v_sub_co_u32 v2, null, v1, s2
	v_sub_co_u32 v7, vcc_lo, v3, s2
	v_subrev_co_ci_u32_e32 v8, vcc_lo, 0, v4, vcc_lo
	s_delay_alu instid0(VALU_DEP_3) | instskip(NEXT) | instid1(VALU_DEP_1)
	v_ashrrev_i32_e32 v3, 31, v2
	v_cmp_gt_i64_e32 vcc_lo, v[7:8], v[2:3]
	s_and_b32 s10, s10, vcc_lo
	s_delay_alu instid0(SALU_CYCLE_1)
	s_and_saveexec_b32 s15, s10
	s_cbranch_execz .LBB9_4
; %bb.2:
	s_clause 0x1
	s_load_b32 s16, s[0:1], 0x38
	s_load_b64 s[10:11], s[0:1], 0x18
	v_subrev_nc_u32_e32 v1, s2, v1
	v_mov_b32_e32 v10, v2
	s_mov_b64 s[0:1], 0
	v_mov_b32_e32 v4, v3
	v_mov_b32_e32 v3, v2
	v_add_nc_u32_e32 v1, 1, v1
	s_delay_alu instid0(VALU_DEP_1)
	v_ashrrev_i32_e32 v9, 31, v1
	s_waitcnt lgkmcnt(0)
	s_sub_i32 s2, s16, s2
.LBB9_3:                                ; =>This Inner Loop Header: Depth=1
	v_lshlrev_b64 v[11:12], 2, v[3:4]
	v_lshlrev_b64 v[3:4], 3, v[3:4]
	v_ashrrev_i32_e32 v6, 31, v5
	s_add_u32 s16, s0, 1
	s_addc_u32 s17, s1, 0
	s_cmp_ge_i32 s16, s3
	v_add_co_u32 v11, vcc_lo, s10, v11
	v_add_co_ci_u32_e32 v12, vcc_lo, s11, v12, vcc_lo
	v_add_co_u32 v3, vcc_lo, s8, v3
	v_add_co_ci_u32_e32 v4, vcc_lo, s9, v4, vcc_lo
	v_add_co_u32 v13, vcc_lo, v1, s0
	global_load_b32 v19, v[11:12], off
	global_load_b64 v[11:12], v[3:4], off
	v_lshlrev_b64 v[15:16], 2, v[5:6]
	v_add_co_ci_u32_e32 v14, vcc_lo, s1, v9, vcc_lo
	v_lshlrev_b64 v[17:18], 3, v[5:6]
	v_add_nc_u32_e32 v3, 1, v10
	s_cselect_b32 s1, -1, 0
	s_delay_alu instid0(VALU_DEP_3) | instskip(SKIP_1) | instid1(VALU_DEP_1)
	v_cmp_le_i64_e32 vcc_lo, v[7:8], v[13:14]
	v_add_co_u32 v13, s0, s4, v15
	v_add_co_ci_u32_e64 v14, s0, s5, v16, s0
	v_add_co_u32 v15, s0, s6, v17
	s_delay_alu instid0(VALU_DEP_1)
	v_add_co_ci_u32_e64 v16, s0, s7, v18, s0
	s_or_b32 s0, vcc_lo, s1
	v_ashrrev_i32_e32 v4, 31, v3
	v_dual_mov_b32 v10, v3 :: v_dual_add_nc_u32 v5, s12, v5
	s_and_b32 s18, exec_lo, s0
	s_mov_b64 s[0:1], s[16:17]
	s_or_b32 s14, s18, s14
	s_waitcnt vmcnt(1)
	v_add_nc_u32_e32 v6, s2, v19
	s_waitcnt vmcnt(0)
	global_store_b64 v[15:16], v[11:12], off
	global_store_b32 v[13:14], v6, off
	s_and_not1_b32 exec_lo, exec_lo, s14
	s_cbranch_execnz .LBB9_3
.LBB9_4:
	s_or_b32 exec_lo, exec_lo, s15
	v_sub_nc_u32_e32 v5, v7, v2
	s_delay_alu instid0(VALU_DEP_1)
	v_cmp_gt_i32_e32 vcc_lo, s3, v5
	s_and_b32 exec_lo, exec_lo, vcc_lo
	s_cbranch_execz .LBB9_7
; %bb.5:
	v_mul_lo_u32 v2, s12, v5
	v_dual_mov_b32 v1, 0 :: v_dual_mov_b32 v6, -1
	s_mov_b32 s1, 0
	s_delay_alu instid0(VALU_DEP_2) | instskip(NEXT) | instid1(VALU_DEP_2)
	v_add3_u32 v3, v0, v2, s13
	v_mov_b32_e32 v2, v1
	.p2align	6
.LBB9_6:                                ; =>This Inner Loop Header: Depth=1
	s_delay_alu instid0(VALU_DEP_2) | instskip(SKIP_1) | instid1(VALU_DEP_2)
	v_ashrrev_i32_e32 v4, 31, v3
	v_add_nc_u32_e32 v5, 1, v5
	v_lshlrev_b64 v[7:8], 2, v[3:4]
	v_lshlrev_b64 v[9:10], 3, v[3:4]
	s_delay_alu instid0(VALU_DEP_3) | instskip(SKIP_1) | instid1(VALU_DEP_4)
	v_cmp_le_i32_e32 vcc_lo, s3, v5
	v_add_nc_u32_e32 v3, s12, v3
	v_add_co_u32 v7, s0, s4, v7
	s_delay_alu instid0(VALU_DEP_1) | instskip(SKIP_1) | instid1(VALU_DEP_1)
	v_add_co_ci_u32_e64 v8, s0, s5, v8, s0
	v_add_co_u32 v9, s0, s6, v9
	v_add_co_ci_u32_e64 v10, s0, s7, v10, s0
	s_or_b32 s1, vcc_lo, s1
	global_store_b32 v[7:8], v6, off
	global_store_b64 v[9:10], v[1:2], off
	s_and_not1_b32 exec_lo, exec_lo, s1
	s_cbranch_execnz .LBB9_6
.LBB9_7:
	s_nop 0
	s_sendmsg sendmsg(MSG_DEALLOC_VGPRS)
	s_endpgm
	.section	.rodata,"a",@progbits
	.p2align	6, 0x0
	.amdhsa_kernel _ZN9rocsparseL14csr2ell_kernelILj512EdliEEvT2_PKT0_PKT1_PKS1_21rocsparse_index_base_S1_PS1_PS2_SA_
		.amdhsa_group_segment_fixed_size 0
		.amdhsa_private_segment_fixed_size 0
		.amdhsa_kernarg_size 60
		.amdhsa_user_sgpr_count 15
		.amdhsa_user_sgpr_dispatch_ptr 0
		.amdhsa_user_sgpr_queue_ptr 0
		.amdhsa_user_sgpr_kernarg_segment_ptr 1
		.amdhsa_user_sgpr_dispatch_id 0
		.amdhsa_user_sgpr_private_segment_size 0
		.amdhsa_wavefront_size32 1
		.amdhsa_uses_dynamic_stack 0
		.amdhsa_enable_private_segment 0
		.amdhsa_system_sgpr_workgroup_id_x 1
		.amdhsa_system_sgpr_workgroup_id_y 0
		.amdhsa_system_sgpr_workgroup_id_z 0
		.amdhsa_system_sgpr_workgroup_info 0
		.amdhsa_system_vgpr_workitem_id 0
		.amdhsa_next_free_vgpr 20
		.amdhsa_next_free_sgpr 19
		.amdhsa_reserve_vcc 1
		.amdhsa_float_round_mode_32 0
		.amdhsa_float_round_mode_16_64 0
		.amdhsa_float_denorm_mode_32 3
		.amdhsa_float_denorm_mode_16_64 3
		.amdhsa_dx10_clamp 1
		.amdhsa_ieee_mode 1
		.amdhsa_fp16_overflow 0
		.amdhsa_workgroup_processor_mode 1
		.amdhsa_memory_ordered 1
		.amdhsa_forward_progress 0
		.amdhsa_shared_vgpr_count 0
		.amdhsa_exception_fp_ieee_invalid_op 0
		.amdhsa_exception_fp_denorm_src 0
		.amdhsa_exception_fp_ieee_div_zero 0
		.amdhsa_exception_fp_ieee_overflow 0
		.amdhsa_exception_fp_ieee_underflow 0
		.amdhsa_exception_fp_ieee_inexact 0
		.amdhsa_exception_int_div_zero 0
	.end_amdhsa_kernel
	.section	.text._ZN9rocsparseL14csr2ell_kernelILj512EdliEEvT2_PKT0_PKT1_PKS1_21rocsparse_index_base_S1_PS1_PS2_SA_,"axG",@progbits,_ZN9rocsparseL14csr2ell_kernelILj512EdliEEvT2_PKT0_PKT1_PKS1_21rocsparse_index_base_S1_PS1_PS2_SA_,comdat
.Lfunc_end9:
	.size	_ZN9rocsparseL14csr2ell_kernelILj512EdliEEvT2_PKT0_PKT1_PKS1_21rocsparse_index_base_S1_PS1_PS2_SA_, .Lfunc_end9-_ZN9rocsparseL14csr2ell_kernelILj512EdliEEvT2_PKT0_PKT1_PKS1_21rocsparse_index_base_S1_PS1_PS2_SA_
                                        ; -- End function
	.section	.AMDGPU.csdata,"",@progbits
; Kernel info:
; codeLenInByte = 628
; NumSgprs: 21
; NumVgprs: 20
; ScratchSize: 0
; MemoryBound: 0
; FloatMode: 240
; IeeeMode: 1
; LDSByteSize: 0 bytes/workgroup (compile time only)
; SGPRBlocks: 2
; VGPRBlocks: 2
; NumSGPRsForWavesPerEU: 21
; NumVGPRsForWavesPerEU: 20
; Occupancy: 16
; WaveLimiterHint : 0
; COMPUTE_PGM_RSRC2:SCRATCH_EN: 0
; COMPUTE_PGM_RSRC2:USER_SGPR: 15
; COMPUTE_PGM_RSRC2:TRAP_HANDLER: 0
; COMPUTE_PGM_RSRC2:TGID_X_EN: 1
; COMPUTE_PGM_RSRC2:TGID_Y_EN: 0
; COMPUTE_PGM_RSRC2:TGID_Z_EN: 0
; COMPUTE_PGM_RSRC2:TIDIG_COMP_CNT: 0
	.section	.text._ZN9rocsparseL14csr2ell_kernelILj512EdilEEvT2_PKT0_PKT1_PKS1_21rocsparse_index_base_S1_PS1_PS2_SA_,"axG",@progbits,_ZN9rocsparseL14csr2ell_kernelILj512EdilEEvT2_PKT0_PKT1_PKS1_21rocsparse_index_base_S1_PS1_PS2_SA_,comdat
	.globl	_ZN9rocsparseL14csr2ell_kernelILj512EdilEEvT2_PKT0_PKT1_PKS1_21rocsparse_index_base_S1_PS1_PS2_SA_ ; -- Begin function _ZN9rocsparseL14csr2ell_kernelILj512EdilEEvT2_PKT0_PKT1_PKS1_21rocsparse_index_base_S1_PS1_PS2_SA_
	.p2align	8
	.type	_ZN9rocsparseL14csr2ell_kernelILj512EdilEEvT2_PKT0_PKT1_PKS1_21rocsparse_index_base_S1_PS1_PS2_SA_,@function
_ZN9rocsparseL14csr2ell_kernelILj512EdilEEvT2_PKT0_PKT1_PKS1_21rocsparse_index_base_S1_PS1_PS2_SA_: ; @_ZN9rocsparseL14csr2ell_kernelILj512EdilEEvT2_PKT0_PKT1_PKS1_21rocsparse_index_base_S1_PS1_PS2_SA_
; %bb.0:
	s_load_b256 s[4:11], s[0:1], 0x0
	s_lshl_b32 s16, s15, 9
	v_mov_b32_e32 v2, 0
	v_or_b32_e32 v1, s16, v0
	s_mov_b32 s2, exec_lo
	s_waitcnt lgkmcnt(0)
	s_delay_alu instid0(VALU_DEP_1)
	v_cmpx_gt_i64_e64 s[4:5], v[1:2]
	s_cbranch_execz .LBB10_7
; %bb.1:
	v_lshlrev_b64 v[2:3], 2, v[1:2]
	s_delay_alu instid0(VALU_DEP_1) | instskip(NEXT) | instid1(VALU_DEP_2)
	v_add_co_u32 v2, vcc_lo, s8, v2
	v_add_co_ci_u32_e32 v3, vcc_lo, s9, v3, vcc_lo
	global_load_b64 v[3:4], v[2:3], off
	s_clause 0x2
	s_load_b128 s[12:15], s[0:1], 0x28
	s_load_b32 s9, s[0:1], 0x20
	s_load_b64 s[2:3], s[0:1], 0x38
	s_waitcnt lgkmcnt(0)
	v_cmp_gt_i64_e64 s5, s[12:13], 0
	s_waitcnt vmcnt(0)
	v_cmp_lt_i32_e32 vcc_lo, v3, v4
	v_subrev_nc_u32_e32 v3, s9, v3
	v_subrev_nc_u32_e32 v8, s9, v4
	s_delay_alu instid0(VALU_DEP_4) | instskip(NEXT) | instid1(SALU_CYCLE_1)
	s_and_b32 s8, s5, vcc_lo
	s_and_saveexec_b32 s5, s8
	s_cbranch_execz .LBB10_4
; %bb.2:
	s_load_b32 s0, s[0:1], 0x40
	v_ashrrev_i32_e32 v4, 31, v3
	s_mov_b32 s8, 0
	s_delay_alu instid0(VALU_DEP_1) | instskip(NEXT) | instid1(VALU_DEP_1)
	v_lshlrev_b64 v[6:7], 3, v[3:4]
	v_add_co_u32 v4, vcc_lo, s10, v6
	s_delay_alu instid0(VALU_DEP_2)
	v_add_co_ci_u32_e32 v5, vcc_lo, s11, v7, vcc_lo
	v_add_co_u32 v6, vcc_lo, s6, v6
	v_add_co_ci_u32_e32 v7, vcc_lo, s7, v7, vcc_lo
	s_waitcnt lgkmcnt(0)
	s_sub_u32 s6, s0, s9
	s_subb_u32 s7, 0, 0
	s_mov_b64 s[0:1], 1
	s_set_inst_prefetch_distance 0x1
	.p2align	6
.LBB10_3:                               ; =>This Inner Loop Header: Depth=1
	global_load_b64 v[9:10], v[4:5], off
	global_load_b64 v[11:12], v[6:7], off
	v_add_co_u32 v4, vcc_lo, v4, 8
	v_ashrrev_i32_e32 v2, 31, v1
	v_add_nc_u32_e32 v13, s0, v3
	v_add_co_ci_u32_e32 v5, vcc_lo, 0, v5, vcc_lo
	v_add_co_u32 v6, vcc_lo, v6, 8
	v_add_co_ci_u32_e32 v7, vcc_lo, 0, v7, vcc_lo
	v_cmp_ge_i64_e64 s9, s[0:1], s[12:13]
	v_cmp_ge_i32_e32 vcc_lo, v13, v8
	v_lshlrev_b64 v[13:14], 3, v[1:2]
	v_add_nc_u32_e32 v1, s4, v1
	s_delay_alu instid0(VALU_DEP_4) | instskip(SKIP_1) | instid1(VALU_DEP_2)
	s_or_b32 s9, vcc_lo, s9
	s_add_u32 s0, s0, 1
	v_add_co_u32 v15, vcc_lo, s14, v13
	s_delay_alu instid0(VALU_DEP_3) | instskip(SKIP_4) | instid1(SALU_CYCLE_1)
	v_add_co_ci_u32_e32 v16, vcc_lo, s15, v14, vcc_lo
	v_add_co_u32 v13, vcc_lo, s2, v13
	v_add_co_ci_u32_e32 v14, vcc_lo, s3, v14, vcc_lo
	s_addc_u32 s1, s1, 0
	s_and_b32 s9, exec_lo, s9
	s_or_b32 s8, s9, s8
	s_waitcnt vmcnt(1)
	v_add_co_u32 v9, vcc_lo, s6, v9
	v_add_co_ci_u32_e32 v10, vcc_lo, s7, v10, vcc_lo
	s_waitcnt vmcnt(0)
	global_store_b64 v[13:14], v[11:12], off
	global_store_b64 v[15:16], v[9:10], off
	s_and_not1_b32 exec_lo, exec_lo, s8
	s_cbranch_execnz .LBB10_3
.LBB10_4:
	s_set_inst_prefetch_distance 0x2
	s_or_b32 exec_lo, exec_lo, s5
	v_sub_nc_u32_e32 v1, v8, v3
	s_delay_alu instid0(VALU_DEP_1) | instskip(NEXT) | instid1(VALU_DEP_1)
	v_ashrrev_i32_e32 v2, 31, v1
	v_cmp_gt_i64_e32 vcc_lo, s[12:13], v[1:2]
	s_and_b32 exec_lo, exec_lo, vcc_lo
	s_cbranch_execz .LBB10_7
; %bb.5:
	v_mul_lo_u32 v6, v1, s4
	v_mov_b32_e32 v5, 0
	v_mov_b32_e32 v3, -1
	s_mov_b32 s1, 0
	s_delay_alu instid0(VALU_DEP_3) | instskip(NEXT) | instid1(VALU_DEP_3)
	v_add3_u32 v7, v0, v6, s16
	v_mov_b32_e32 v6, v5
	s_delay_alu instid0(VALU_DEP_3)
	v_mov_b32_e32 v4, v3
	.p2align	6
.LBB10_6:                               ; =>This Inner Loop Header: Depth=1
	s_delay_alu instid0(VALU_DEP_3) | instskip(SKIP_2) | instid1(VALU_DEP_3)
	v_ashrrev_i32_e32 v8, 31, v7
	v_add_co_u32 v1, vcc_lo, v1, 1
	v_add_co_ci_u32_e32 v2, vcc_lo, 0, v2, vcc_lo
	v_lshlrev_b64 v[8:9], 3, v[7:8]
	v_add_nc_u32_e32 v7, s4, v7
	s_delay_alu instid0(VALU_DEP_3) | instskip(NEXT) | instid1(VALU_DEP_3)
	v_cmp_le_i64_e32 vcc_lo, s[12:13], v[1:2]
	v_add_co_u32 v10, s0, s14, v8
	s_delay_alu instid0(VALU_DEP_1) | instskip(SKIP_1) | instid1(VALU_DEP_1)
	v_add_co_ci_u32_e64 v11, s0, s15, v9, s0
	v_add_co_u32 v8, s0, s2, v8
	v_add_co_ci_u32_e64 v9, s0, s3, v9, s0
	s_or_b32 s1, vcc_lo, s1
	global_store_b64 v[10:11], v[3:4], off
	global_store_b64 v[8:9], v[5:6], off
	s_and_not1_b32 exec_lo, exec_lo, s1
	s_cbranch_execnz .LBB10_6
.LBB10_7:
	s_nop 0
	s_sendmsg sendmsg(MSG_DEALLOC_VGPRS)
	s_endpgm
	.section	.rodata,"a",@progbits
	.p2align	6, 0x0
	.amdhsa_kernel _ZN9rocsparseL14csr2ell_kernelILj512EdilEEvT2_PKT0_PKT1_PKS1_21rocsparse_index_base_S1_PS1_PS2_SA_
		.amdhsa_group_segment_fixed_size 0
		.amdhsa_private_segment_fixed_size 0
		.amdhsa_kernarg_size 68
		.amdhsa_user_sgpr_count 15
		.amdhsa_user_sgpr_dispatch_ptr 0
		.amdhsa_user_sgpr_queue_ptr 0
		.amdhsa_user_sgpr_kernarg_segment_ptr 1
		.amdhsa_user_sgpr_dispatch_id 0
		.amdhsa_user_sgpr_private_segment_size 0
		.amdhsa_wavefront_size32 1
		.amdhsa_uses_dynamic_stack 0
		.amdhsa_enable_private_segment 0
		.amdhsa_system_sgpr_workgroup_id_x 1
		.amdhsa_system_sgpr_workgroup_id_y 0
		.amdhsa_system_sgpr_workgroup_id_z 0
		.amdhsa_system_sgpr_workgroup_info 0
		.amdhsa_system_vgpr_workitem_id 0
		.amdhsa_next_free_vgpr 17
		.amdhsa_next_free_sgpr 17
		.amdhsa_reserve_vcc 1
		.amdhsa_float_round_mode_32 0
		.amdhsa_float_round_mode_16_64 0
		.amdhsa_float_denorm_mode_32 3
		.amdhsa_float_denorm_mode_16_64 3
		.amdhsa_dx10_clamp 1
		.amdhsa_ieee_mode 1
		.amdhsa_fp16_overflow 0
		.amdhsa_workgroup_processor_mode 1
		.amdhsa_memory_ordered 1
		.amdhsa_forward_progress 0
		.amdhsa_shared_vgpr_count 0
		.amdhsa_exception_fp_ieee_invalid_op 0
		.amdhsa_exception_fp_denorm_src 0
		.amdhsa_exception_fp_ieee_div_zero 0
		.amdhsa_exception_fp_ieee_overflow 0
		.amdhsa_exception_fp_ieee_underflow 0
		.amdhsa_exception_fp_ieee_inexact 0
		.amdhsa_exception_int_div_zero 0
	.end_amdhsa_kernel
	.section	.text._ZN9rocsparseL14csr2ell_kernelILj512EdilEEvT2_PKT0_PKT1_PKS1_21rocsparse_index_base_S1_PS1_PS2_SA_,"axG",@progbits,_ZN9rocsparseL14csr2ell_kernelILj512EdilEEvT2_PKT0_PKT1_PKS1_21rocsparse_index_base_S1_PS1_PS2_SA_,comdat
.Lfunc_end10:
	.size	_ZN9rocsparseL14csr2ell_kernelILj512EdilEEvT2_PKT0_PKT1_PKS1_21rocsparse_index_base_S1_PS1_PS2_SA_, .Lfunc_end10-_ZN9rocsparseL14csr2ell_kernelILj512EdilEEvT2_PKT0_PKT1_PKS1_21rocsparse_index_base_S1_PS1_PS2_SA_
                                        ; -- End function
	.section	.AMDGPU.csdata,"",@progbits
; Kernel info:
; codeLenInByte = 584
; NumSgprs: 19
; NumVgprs: 17
; ScratchSize: 0
; MemoryBound: 0
; FloatMode: 240
; IeeeMode: 1
; LDSByteSize: 0 bytes/workgroup (compile time only)
; SGPRBlocks: 2
; VGPRBlocks: 2
; NumSGPRsForWavesPerEU: 19
; NumVGPRsForWavesPerEU: 17
; Occupancy: 16
; WaveLimiterHint : 0
; COMPUTE_PGM_RSRC2:SCRATCH_EN: 0
; COMPUTE_PGM_RSRC2:USER_SGPR: 15
; COMPUTE_PGM_RSRC2:TRAP_HANDLER: 0
; COMPUTE_PGM_RSRC2:TGID_X_EN: 1
; COMPUTE_PGM_RSRC2:TGID_Y_EN: 0
; COMPUTE_PGM_RSRC2:TGID_Z_EN: 0
; COMPUTE_PGM_RSRC2:TIDIG_COMP_CNT: 0
	.section	.text._ZN9rocsparseL14csr2ell_kernelILj512EdllEEvT2_PKT0_PKT1_PKS1_21rocsparse_index_base_S1_PS1_PS2_SA_,"axG",@progbits,_ZN9rocsparseL14csr2ell_kernelILj512EdllEEvT2_PKT0_PKT1_PKS1_21rocsparse_index_base_S1_PS1_PS2_SA_,comdat
	.globl	_ZN9rocsparseL14csr2ell_kernelILj512EdllEEvT2_PKT0_PKT1_PKS1_21rocsparse_index_base_S1_PS1_PS2_SA_ ; -- Begin function _ZN9rocsparseL14csr2ell_kernelILj512EdllEEvT2_PKT0_PKT1_PKS1_21rocsparse_index_base_S1_PS1_PS2_SA_
	.p2align	8
	.type	_ZN9rocsparseL14csr2ell_kernelILj512EdllEEvT2_PKT0_PKT1_PKS1_21rocsparse_index_base_S1_PS1_PS2_SA_,@function
_ZN9rocsparseL14csr2ell_kernelILj512EdllEEvT2_PKT0_PKT1_PKS1_21rocsparse_index_base_S1_PS1_PS2_SA_: ; @_ZN9rocsparseL14csr2ell_kernelILj512EdllEEvT2_PKT0_PKT1_PKS1_21rocsparse_index_base_S1_PS1_PS2_SA_
; %bb.0:
	s_load_b256 s[4:11], s[0:1], 0x0
	v_lshl_or_b32 v6, s15, 9, v0
	v_mov_b32_e32 v7, 0
	s_mov_b32 s2, exec_lo
	s_waitcnt lgkmcnt(0)
	s_delay_alu instid0(VALU_DEP_1)
	v_cmpx_gt_i64_e64 s[4:5], v[6:7]
	s_cbranch_execz .LBB11_7
; %bb.1:
	v_lshlrev_b64 v[4:5], 3, v[6:7]
	s_mov_b32 s16, 0
	s_delay_alu instid0(VALU_DEP_1) | instskip(NEXT) | instid1(VALU_DEP_2)
	v_add_co_u32 v0, vcc_lo, s8, v4
	v_add_co_ci_u32_e32 v1, vcc_lo, s9, v5, vcc_lo
	global_load_b128 v[0:3], v[0:1], off
	s_clause 0x2
	s_load_b32 s8, s[0:1], 0x20
	s_load_b128 s[12:15], s[0:1], 0x28
	s_load_b64 s[2:3], s[0:1], 0x38
	s_waitcnt lgkmcnt(0)
	v_cmp_gt_i64_e64 s9, s[12:13], 0
	s_waitcnt vmcnt(0)
	v_sub_co_u32 v8, vcc_lo, v0, s8
	v_subrev_co_ci_u32_e32 v11, vcc_lo, 0, v1, vcc_lo
	v_sub_co_u32 v1, vcc_lo, v2, s8
	v_subrev_co_ci_u32_e32 v2, vcc_lo, 0, v3, vcc_lo
	s_delay_alu instid0(VALU_DEP_4) | instskip(NEXT) | instid1(VALU_DEP_1)
	v_ashrrev_i32_e32 v9, 31, v8
	v_cmp_gt_i64_e32 vcc_lo, v[1:2], v[8:9]
	s_and_b32 s9, s9, vcc_lo
	s_delay_alu instid0(SALU_CYCLE_1)
	s_and_saveexec_b32 s17, s9
	s_cbranch_execz .LBB11_4
; %bb.2:
	s_load_b32 s0, s[0:1], 0x40
	v_subrev_nc_u32_e32 v0, s8, v0
	v_mov_b32_e32 v10, v9
	v_mov_b32_e32 v12, v8
	s_delay_alu instid0(VALU_DEP_3) | instskip(NEXT) | instid1(VALU_DEP_1)
	v_dual_mov_b32 v9, v8 :: v_dual_add_nc_u32 v0, 1, v0
	v_ashrrev_i32_e32 v3, 31, v0
	s_waitcnt lgkmcnt(0)
	s_sub_u32 s1, s0, s8
	s_subb_u32 s18, 0, 0
	s_mov_b64 s[8:9], 1
.LBB11_3:                               ; =>This Inner Loop Header: Depth=1
	v_lshlrev_b64 v[9:10], 3, v[9:10]
	v_ashrrev_i32_e32 v7, 31, v6
	v_cmp_ge_i64_e64 s19, s[8:9], s[12:13]
	s_delay_alu instid0(VALU_DEP_2) | instskip(NEXT) | instid1(VALU_DEP_4)
	v_lshlrev_b64 v[19:20], 3, v[6:7]
	v_add_co_u32 v13, vcc_lo, s10, v9
	v_add_co_ci_u32_e32 v14, vcc_lo, s11, v10, vcc_lo
	v_add_co_u32 v9, vcc_lo, s6, v9
	v_add_co_ci_u32_e32 v10, vcc_lo, s7, v10, vcc_lo
	global_load_b64 v[13:14], v[13:14], off
	global_load_b64 v[15:16], v[9:10], off
	v_add_co_u32 v10, vcc_lo, v0, s8
	v_add_nc_u32_e32 v9, 1, v12
	v_add_co_ci_u32_e32 v12, vcc_lo, s9, v3, vcc_lo
	s_delay_alu instid0(VALU_DEP_3) | instskip(NEXT) | instid1(VALU_DEP_3)
	v_add_co_u32 v17, vcc_lo, v10, -1
	v_ashrrev_i32_e32 v10, 31, v9
	s_delay_alu instid0(VALU_DEP_3) | instskip(SKIP_2) | instid1(VALU_DEP_3)
	v_add_co_ci_u32_e32 v18, vcc_lo, -1, v12, vcc_lo
	v_add_nc_u32_e32 v6, s4, v6
	v_mov_b32_e32 v12, v9
	v_cmp_le_i64_e32 vcc_lo, v[1:2], v[17:18]
	v_add_co_u32 v17, s0, s14, v19
	s_delay_alu instid0(VALU_DEP_1) | instskip(SKIP_1) | instid1(VALU_DEP_1)
	v_add_co_ci_u32_e64 v18, s0, s15, v20, s0
	v_add_co_u32 v19, s0, s2, v19
	v_add_co_ci_u32_e64 v20, s0, s3, v20, s0
	s_or_b32 s0, vcc_lo, s19
	s_add_u32 s8, s8, 1
	s_addc_u32 s9, s9, 0
	s_and_b32 s0, exec_lo, s0
	s_delay_alu instid0(SALU_CYCLE_1)
	s_or_b32 s16, s0, s16
	s_waitcnt vmcnt(1)
	v_add_co_u32 v13, vcc_lo, s1, v13
	v_add_co_ci_u32_e32 v14, vcc_lo, s18, v14, vcc_lo
	s_waitcnt vmcnt(0)
	global_store_b64 v[19:20], v[15:16], off
	global_store_b64 v[17:18], v[13:14], off
	s_and_not1_b32 exec_lo, exec_lo, s16
	s_cbranch_execnz .LBB11_3
.LBB11_4:
	s_or_b32 exec_lo, exec_lo, s17
	v_sub_co_u32 v0, vcc_lo, v1, v8
	v_sub_co_ci_u32_e32 v1, vcc_lo, v2, v11, vcc_lo
	s_delay_alu instid0(VALU_DEP_1)
	v_cmp_gt_i64_e32 vcc_lo, s[12:13], v[0:1]
	s_and_b32 exec_lo, exec_lo, vcc_lo
	s_cbranch_execz .LBB11_7
; %bb.5:
	v_mul_lo_u32 v2, s5, v0
	v_mul_lo_u32 v3, s4, v1
	v_mad_u64_u32 v[6:7], null, s4, v0, 0
	s_lshl_b64 s[4:5], s[4:5], 3
	s_mov_b32 s1, 0
	s_delay_alu instid0(VALU_DEP_1) | instskip(NEXT) | instid1(VALU_DEP_1)
	v_add3_u32 v7, v7, v3, v2
	v_lshlrev_b64 v[7:8], 3, v[6:7]
	v_mov_b32_e32 v6, 0
	v_mov_b32_e32 v2, -1
	s_delay_alu instid0(VALU_DEP_3) | instskip(NEXT) | instid1(VALU_DEP_3)
	v_add_co_u32 v4, vcc_lo, v7, v4
	v_mov_b32_e32 v7, v6
	s_delay_alu instid0(VALU_DEP_3)
	v_mov_b32_e32 v3, v2
	v_add_co_ci_u32_e32 v5, vcc_lo, v8, v5, vcc_lo
	.p2align	6
.LBB11_6:                               ; =>This Inner Loop Header: Depth=1
	s_delay_alu instid0(VALU_DEP_4) | instskip(NEXT) | instid1(VALU_DEP_2)
	v_add_co_u32 v8, vcc_lo, s14, v4
	v_add_co_ci_u32_e32 v9, vcc_lo, s15, v5, vcc_lo
	v_add_co_u32 v0, vcc_lo, v0, 1
	v_add_co_ci_u32_e32 v1, vcc_lo, 0, v1, vcc_lo
	;; [unrolled: 2-line block ×3, first 2 shown]
	s_delay_alu instid0(VALU_DEP_3) | instskip(SKIP_1) | instid1(VALU_DEP_1)
	v_cmp_le_i64_e32 vcc_lo, s[12:13], v[0:1]
	v_add_co_u32 v4, s0, v4, s4
	v_add_co_ci_u32_e64 v5, s0, s5, v5, s0
	global_store_b64 v[8:9], v[2:3], off
	global_store_b64 v[10:11], v[6:7], off
	s_or_b32 s1, vcc_lo, s1
	s_delay_alu instid0(SALU_CYCLE_1)
	s_and_not1_b32 exec_lo, exec_lo, s1
	s_cbranch_execnz .LBB11_6
.LBB11_7:
	s_nop 0
	s_sendmsg sendmsg(MSG_DEALLOC_VGPRS)
	s_endpgm
	.section	.rodata,"a",@progbits
	.p2align	6, 0x0
	.amdhsa_kernel _ZN9rocsparseL14csr2ell_kernelILj512EdllEEvT2_PKT0_PKT1_PKS1_21rocsparse_index_base_S1_PS1_PS2_SA_
		.amdhsa_group_segment_fixed_size 0
		.amdhsa_private_segment_fixed_size 0
		.amdhsa_kernarg_size 68
		.amdhsa_user_sgpr_count 15
		.amdhsa_user_sgpr_dispatch_ptr 0
		.amdhsa_user_sgpr_queue_ptr 0
		.amdhsa_user_sgpr_kernarg_segment_ptr 1
		.amdhsa_user_sgpr_dispatch_id 0
		.amdhsa_user_sgpr_private_segment_size 0
		.amdhsa_wavefront_size32 1
		.amdhsa_uses_dynamic_stack 0
		.amdhsa_enable_private_segment 0
		.amdhsa_system_sgpr_workgroup_id_x 1
		.amdhsa_system_sgpr_workgroup_id_y 0
		.amdhsa_system_sgpr_workgroup_id_z 0
		.amdhsa_system_sgpr_workgroup_info 0
		.amdhsa_system_vgpr_workitem_id 0
		.amdhsa_next_free_vgpr 21
		.amdhsa_next_free_sgpr 20
		.amdhsa_reserve_vcc 1
		.amdhsa_float_round_mode_32 0
		.amdhsa_float_round_mode_16_64 0
		.amdhsa_float_denorm_mode_32 3
		.amdhsa_float_denorm_mode_16_64 3
		.amdhsa_dx10_clamp 1
		.amdhsa_ieee_mode 1
		.amdhsa_fp16_overflow 0
		.amdhsa_workgroup_processor_mode 1
		.amdhsa_memory_ordered 1
		.amdhsa_forward_progress 0
		.amdhsa_shared_vgpr_count 0
		.amdhsa_exception_fp_ieee_invalid_op 0
		.amdhsa_exception_fp_denorm_src 0
		.amdhsa_exception_fp_ieee_div_zero 0
		.amdhsa_exception_fp_ieee_overflow 0
		.amdhsa_exception_fp_ieee_underflow 0
		.amdhsa_exception_fp_ieee_inexact 0
		.amdhsa_exception_int_div_zero 0
	.end_amdhsa_kernel
	.section	.text._ZN9rocsparseL14csr2ell_kernelILj512EdllEEvT2_PKT0_PKT1_PKS1_21rocsparse_index_base_S1_PS1_PS2_SA_,"axG",@progbits,_ZN9rocsparseL14csr2ell_kernelILj512EdllEEvT2_PKT0_PKT1_PKS1_21rocsparse_index_base_S1_PS1_PS2_SA_,comdat
.Lfunc_end11:
	.size	_ZN9rocsparseL14csr2ell_kernelILj512EdllEEvT2_PKT0_PKT1_PKS1_21rocsparse_index_base_S1_PS1_PS2_SA_, .Lfunc_end11-_ZN9rocsparseL14csr2ell_kernelILj512EdllEEvT2_PKT0_PKT1_PKS1_21rocsparse_index_base_S1_PS1_PS2_SA_
                                        ; -- End function
	.section	.AMDGPU.csdata,"",@progbits
; Kernel info:
; codeLenInByte = 684
; NumSgprs: 22
; NumVgprs: 21
; ScratchSize: 0
; MemoryBound: 0
; FloatMode: 240
; IeeeMode: 1
; LDSByteSize: 0 bytes/workgroup (compile time only)
; SGPRBlocks: 2
; VGPRBlocks: 2
; NumSGPRsForWavesPerEU: 22
; NumVGPRsForWavesPerEU: 21
; Occupancy: 16
; WaveLimiterHint : 0
; COMPUTE_PGM_RSRC2:SCRATCH_EN: 0
; COMPUTE_PGM_RSRC2:USER_SGPR: 15
; COMPUTE_PGM_RSRC2:TRAP_HANDLER: 0
; COMPUTE_PGM_RSRC2:TGID_X_EN: 1
; COMPUTE_PGM_RSRC2:TGID_Y_EN: 0
; COMPUTE_PGM_RSRC2:TGID_Z_EN: 0
; COMPUTE_PGM_RSRC2:TIDIG_COMP_CNT: 0
	.section	.text._ZN9rocsparseL14csr2ell_kernelILj512E21rocsparse_complex_numIfEiiEEvT2_PKT0_PKT1_PKS3_21rocsparse_index_base_S3_PS3_PS4_SC_,"axG",@progbits,_ZN9rocsparseL14csr2ell_kernelILj512E21rocsparse_complex_numIfEiiEEvT2_PKT0_PKT1_PKS3_21rocsparse_index_base_S3_PS3_PS4_SC_,comdat
	.globl	_ZN9rocsparseL14csr2ell_kernelILj512E21rocsparse_complex_numIfEiiEEvT2_PKT0_PKT1_PKS3_21rocsparse_index_base_S3_PS3_PS4_SC_ ; -- Begin function _ZN9rocsparseL14csr2ell_kernelILj512E21rocsparse_complex_numIfEiiEEvT2_PKT0_PKT1_PKS3_21rocsparse_index_base_S3_PS3_PS4_SC_
	.p2align	8
	.type	_ZN9rocsparseL14csr2ell_kernelILj512E21rocsparse_complex_numIfEiiEEvT2_PKT0_PKT1_PKS3_21rocsparse_index_base_S3_PS3_PS4_SC_,@function
_ZN9rocsparseL14csr2ell_kernelILj512E21rocsparse_complex_numIfEiiEEvT2_PKT0_PKT1_PKS3_21rocsparse_index_base_S3_PS3_PS4_SC_: ; @_ZN9rocsparseL14csr2ell_kernelILj512E21rocsparse_complex_numIfEiiEEvT2_PKT0_PKT1_PKS3_21rocsparse_index_base_S3_PS3_PS4_SC_
; %bb.0:
	s_load_b32 s12, s[0:1], 0x0
	s_lshl_b32 s13, s15, 9
	s_mov_b32 s2, exec_lo
	v_or_b32_e32 v1, s13, v0
	s_waitcnt lgkmcnt(0)
	s_delay_alu instid0(VALU_DEP_1)
	v_cmpx_gt_i32_e64 s12, v1
	s_cbranch_execz .LBB12_7
; %bb.1:
	s_clause 0x1
	s_load_b128 s[8:11], s[0:1], 0x8
	s_load_b64 s[2:3], s[0:1], 0x20
	v_ashrrev_i32_e32 v2, 31, v1
	s_load_b128 s[4:7], s[0:1], 0x28
	s_delay_alu instid0(VALU_DEP_1) | instskip(SKIP_1) | instid1(VALU_DEP_1)
	v_lshlrev_b64 v[2:3], 2, v[1:2]
	s_waitcnt lgkmcnt(0)
	v_add_co_u32 v2, vcc_lo, s10, v2
	s_delay_alu instid0(VALU_DEP_2)
	v_add_co_ci_u32_e32 v3, vcc_lo, s11, v3, vcc_lo
	s_cmp_gt_i32 s3, 0
	s_mov_b32 s10, 0
	s_cselect_b32 s11, -1, 0
	global_load_b64 v[4:5], v[2:3], off
	s_waitcnt vmcnt(0)
	v_cmp_lt_i32_e32 vcc_lo, v4, v5
	v_subrev_nc_u32_e32 v3, s2, v4
	v_subrev_nc_u32_e32 v8, s2, v5
	s_and_b32 s14, s11, vcc_lo
	s_delay_alu instid0(SALU_CYCLE_1)
	s_and_saveexec_b32 s11, s14
	s_cbranch_execz .LBB12_4
; %bb.2:
	s_clause 0x1
	s_load_b64 s[14:15], s[0:1], 0x18
	s_load_b32 s0, s[0:1], 0x38
	v_ashrrev_i32_e32 v4, 31, v3
	s_mov_b32 s1, 1
	s_delay_alu instid0(VALU_DEP_1) | instskip(SKIP_2) | instid1(VALU_DEP_2)
	v_lshlrev_b64 v[5:6], 2, v[3:4]
	v_lshlrev_b64 v[9:10], 3, v[3:4]
	s_waitcnt lgkmcnt(0)
	v_add_co_u32 v4, vcc_lo, s14, v5
	s_delay_alu instid0(VALU_DEP_3) | instskip(NEXT) | instid1(VALU_DEP_3)
	v_add_co_ci_u32_e32 v5, vcc_lo, s15, v6, vcc_lo
	v_add_co_u32 v6, vcc_lo, s8, v9
	s_delay_alu instid0(VALU_DEP_4)
	v_add_co_ci_u32_e32 v7, vcc_lo, s9, v10, vcc_lo
	s_sub_i32 s0, s0, s2
	s_set_inst_prefetch_distance 0x1
	.p2align	6
.LBB12_3:                               ; =>This Inner Loop Header: Depth=1
	global_load_b32 v11, v[4:5], off
	v_ashrrev_i32_e32 v2, 31, v1
	s_cmp_ge_i32 s1, s3
	s_cselect_b32 s2, -1, 0
	s_delay_alu instid0(VALU_DEP_1) | instskip(NEXT) | instid1(VALU_DEP_1)
	v_lshlrev_b64 v[9:10], 2, v[1:2]
	v_add_co_u32 v9, vcc_lo, s4, v9
	s_delay_alu instid0(VALU_DEP_2)
	v_add_co_ci_u32_e32 v10, vcc_lo, s5, v10, vcc_lo
	v_add_co_u32 v4, vcc_lo, v4, 4
	v_add_co_ci_u32_e32 v5, vcc_lo, 0, v5, vcc_lo
	s_waitcnt vmcnt(0)
	v_add_nc_u32_e32 v11, s0, v11
	global_store_b32 v[9:10], v11, off
	global_load_b64 v[9:10], v[6:7], off
	v_add_nc_u32_e32 v11, s1, v3
	s_add_i32 s1, s1, 1
	s_delay_alu instid0(VALU_DEP_1) | instskip(SKIP_3) | instid1(VALU_DEP_2)
	v_cmp_ge_i32_e32 vcc_lo, v11, v8
	v_lshlrev_b64 v[11:12], 3, v[1:2]
	v_add_nc_u32_e32 v1, s12, v1
	s_or_b32 s2, vcc_lo, s2
	v_add_co_u32 v11, vcc_lo, s6, v11
	s_delay_alu instid0(VALU_DEP_3) | instskip(SKIP_3) | instid1(SALU_CYCLE_1)
	v_add_co_ci_u32_e32 v12, vcc_lo, s7, v12, vcc_lo
	v_add_co_u32 v6, vcc_lo, v6, 8
	v_add_co_ci_u32_e32 v7, vcc_lo, 0, v7, vcc_lo
	s_and_b32 s2, exec_lo, s2
	s_or_b32 s10, s2, s10
	s_waitcnt vmcnt(0)
	global_store_b64 v[11:12], v[9:10], off
	s_and_not1_b32 exec_lo, exec_lo, s10
	s_cbranch_execnz .LBB12_3
.LBB12_4:
	s_set_inst_prefetch_distance 0x2
	s_or_b32 exec_lo, exec_lo, s11
	v_sub_nc_u32_e32 v5, v8, v3
	s_delay_alu instid0(VALU_DEP_1)
	v_cmp_gt_i32_e32 vcc_lo, s3, v5
	s_and_b32 exec_lo, exec_lo, vcc_lo
	s_cbranch_execz .LBB12_7
; %bb.5:
	v_mul_lo_u32 v2, s12, v5
	v_dual_mov_b32 v1, 0 :: v_dual_mov_b32 v6, -1
	s_mov_b32 s1, 0
	s_delay_alu instid0(VALU_DEP_2) | instskip(NEXT) | instid1(VALU_DEP_2)
	v_add3_u32 v3, v0, v2, s13
	v_mov_b32_e32 v2, v1
	.p2align	6
.LBB12_6:                               ; =>This Inner Loop Header: Depth=1
	s_delay_alu instid0(VALU_DEP_2) | instskip(SKIP_1) | instid1(VALU_DEP_2)
	v_ashrrev_i32_e32 v4, 31, v3
	v_add_nc_u32_e32 v5, 1, v5
	v_lshlrev_b64 v[7:8], 2, v[3:4]
	v_lshlrev_b64 v[9:10], 3, v[3:4]
	s_delay_alu instid0(VALU_DEP_3) | instskip(SKIP_1) | instid1(VALU_DEP_4)
	v_cmp_le_i32_e32 vcc_lo, s3, v5
	v_add_nc_u32_e32 v3, s12, v3
	v_add_co_u32 v7, s0, s4, v7
	s_delay_alu instid0(VALU_DEP_1) | instskip(SKIP_1) | instid1(VALU_DEP_1)
	v_add_co_ci_u32_e64 v8, s0, s5, v8, s0
	v_add_co_u32 v9, s0, s6, v9
	v_add_co_ci_u32_e64 v10, s0, s7, v10, s0
	s_or_b32 s1, vcc_lo, s1
	global_store_b32 v[7:8], v6, off
	global_store_b64 v[9:10], v[1:2], off
	s_and_not1_b32 exec_lo, exec_lo, s1
	s_cbranch_execnz .LBB12_6
.LBB12_7:
	s_nop 0
	s_sendmsg sendmsg(MSG_DEALLOC_VGPRS)
	s_endpgm
	.section	.rodata,"a",@progbits
	.p2align	6, 0x0
	.amdhsa_kernel _ZN9rocsparseL14csr2ell_kernelILj512E21rocsparse_complex_numIfEiiEEvT2_PKT0_PKT1_PKS3_21rocsparse_index_base_S3_PS3_PS4_SC_
		.amdhsa_group_segment_fixed_size 0
		.amdhsa_private_segment_fixed_size 0
		.amdhsa_kernarg_size 60
		.amdhsa_user_sgpr_count 15
		.amdhsa_user_sgpr_dispatch_ptr 0
		.amdhsa_user_sgpr_queue_ptr 0
		.amdhsa_user_sgpr_kernarg_segment_ptr 1
		.amdhsa_user_sgpr_dispatch_id 0
		.amdhsa_user_sgpr_private_segment_size 0
		.amdhsa_wavefront_size32 1
		.amdhsa_uses_dynamic_stack 0
		.amdhsa_enable_private_segment 0
		.amdhsa_system_sgpr_workgroup_id_x 1
		.amdhsa_system_sgpr_workgroup_id_y 0
		.amdhsa_system_sgpr_workgroup_id_z 0
		.amdhsa_system_sgpr_workgroup_info 0
		.amdhsa_system_vgpr_workitem_id 0
		.amdhsa_next_free_vgpr 13
		.amdhsa_next_free_sgpr 16
		.amdhsa_reserve_vcc 1
		.amdhsa_float_round_mode_32 0
		.amdhsa_float_round_mode_16_64 0
		.amdhsa_float_denorm_mode_32 3
		.amdhsa_float_denorm_mode_16_64 3
		.amdhsa_dx10_clamp 1
		.amdhsa_ieee_mode 1
		.amdhsa_fp16_overflow 0
		.amdhsa_workgroup_processor_mode 1
		.amdhsa_memory_ordered 1
		.amdhsa_forward_progress 0
		.amdhsa_shared_vgpr_count 0
		.amdhsa_exception_fp_ieee_invalid_op 0
		.amdhsa_exception_fp_denorm_src 0
		.amdhsa_exception_fp_ieee_div_zero 0
		.amdhsa_exception_fp_ieee_overflow 0
		.amdhsa_exception_fp_ieee_underflow 0
		.amdhsa_exception_fp_ieee_inexact 0
		.amdhsa_exception_int_div_zero 0
	.end_amdhsa_kernel
	.section	.text._ZN9rocsparseL14csr2ell_kernelILj512E21rocsparse_complex_numIfEiiEEvT2_PKT0_PKT1_PKS3_21rocsparse_index_base_S3_PS3_PS4_SC_,"axG",@progbits,_ZN9rocsparseL14csr2ell_kernelILj512E21rocsparse_complex_numIfEiiEEvT2_PKT0_PKT1_PKS3_21rocsparse_index_base_S3_PS3_PS4_SC_,comdat
.Lfunc_end12:
	.size	_ZN9rocsparseL14csr2ell_kernelILj512E21rocsparse_complex_numIfEiiEEvT2_PKT0_PKT1_PKS3_21rocsparse_index_base_S3_PS3_PS4_SC_, .Lfunc_end12-_ZN9rocsparseL14csr2ell_kernelILj512E21rocsparse_complex_numIfEiiEEvT2_PKT0_PKT1_PKS3_21rocsparse_index_base_S3_PS3_PS4_SC_
                                        ; -- End function
	.section	.AMDGPU.csdata,"",@progbits
; Kernel info:
; codeLenInByte = 600
; NumSgprs: 18
; NumVgprs: 13
; ScratchSize: 0
; MemoryBound: 0
; FloatMode: 240
; IeeeMode: 1
; LDSByteSize: 0 bytes/workgroup (compile time only)
; SGPRBlocks: 2
; VGPRBlocks: 1
; NumSGPRsForWavesPerEU: 18
; NumVGPRsForWavesPerEU: 13
; Occupancy: 16
; WaveLimiterHint : 0
; COMPUTE_PGM_RSRC2:SCRATCH_EN: 0
; COMPUTE_PGM_RSRC2:USER_SGPR: 15
; COMPUTE_PGM_RSRC2:TRAP_HANDLER: 0
; COMPUTE_PGM_RSRC2:TGID_X_EN: 1
; COMPUTE_PGM_RSRC2:TGID_Y_EN: 0
; COMPUTE_PGM_RSRC2:TGID_Z_EN: 0
; COMPUTE_PGM_RSRC2:TIDIG_COMP_CNT: 0
	.section	.text._ZN9rocsparseL14csr2ell_kernelILj512E21rocsparse_complex_numIfEliEEvT2_PKT0_PKT1_PKS3_21rocsparse_index_base_S3_PS3_PS4_SC_,"axG",@progbits,_ZN9rocsparseL14csr2ell_kernelILj512E21rocsparse_complex_numIfEliEEvT2_PKT0_PKT1_PKS3_21rocsparse_index_base_S3_PS3_PS4_SC_,comdat
	.globl	_ZN9rocsparseL14csr2ell_kernelILj512E21rocsparse_complex_numIfEliEEvT2_PKT0_PKT1_PKS3_21rocsparse_index_base_S3_PS3_PS4_SC_ ; -- Begin function _ZN9rocsparseL14csr2ell_kernelILj512E21rocsparse_complex_numIfEliEEvT2_PKT0_PKT1_PKS3_21rocsparse_index_base_S3_PS3_PS4_SC_
	.p2align	8
	.type	_ZN9rocsparseL14csr2ell_kernelILj512E21rocsparse_complex_numIfEliEEvT2_PKT0_PKT1_PKS3_21rocsparse_index_base_S3_PS3_PS4_SC_,@function
_ZN9rocsparseL14csr2ell_kernelILj512E21rocsparse_complex_numIfEliEEvT2_PKT0_PKT1_PKS3_21rocsparse_index_base_S3_PS3_PS4_SC_: ; @_ZN9rocsparseL14csr2ell_kernelILj512E21rocsparse_complex_numIfEliEEvT2_PKT0_PKT1_PKS3_21rocsparse_index_base_S3_PS3_PS4_SC_
; %bb.0:
	s_load_b32 s14, s[0:1], 0x0
	s_lshl_b32 s15, s15, 9
	s_mov_b32 s2, exec_lo
	v_or_b32_e32 v5, s15, v0
	s_waitcnt lgkmcnt(0)
	s_delay_alu instid0(VALU_DEP_1)
	v_cmpx_gt_i32_e64 s14, v5
	s_cbranch_execz .LBB13_7
; %bb.1:
	s_clause 0x1
	s_load_b128 s[8:11], s[0:1], 0x8
	s_load_b64 s[2:3], s[0:1], 0x20
	v_ashrrev_i32_e32 v6, 31, v5
	s_load_b128 s[4:7], s[0:1], 0x28
	s_mov_b32 s16, 0
	s_delay_alu instid0(VALU_DEP_1) | instskip(SKIP_1) | instid1(VALU_DEP_1)
	v_lshlrev_b64 v[1:2], 3, v[5:6]
	s_waitcnt lgkmcnt(0)
	v_add_co_u32 v1, vcc_lo, s10, v1
	s_delay_alu instid0(VALU_DEP_2)
	v_add_co_ci_u32_e32 v2, vcc_lo, s11, v2, vcc_lo
	s_cmp_gt_i32 s3, 0
	s_cselect_b32 s10, -1, 0
	global_load_b128 v[1:4], v[1:2], off
	s_waitcnt vmcnt(0)
	v_sub_co_u32 v2, null, v1, s2
	v_sub_co_u32 v7, vcc_lo, v3, s2
	v_subrev_co_ci_u32_e32 v8, vcc_lo, 0, v4, vcc_lo
	s_delay_alu instid0(VALU_DEP_3) | instskip(NEXT) | instid1(VALU_DEP_1)
	v_ashrrev_i32_e32 v3, 31, v2
	v_cmp_gt_i64_e32 vcc_lo, v[7:8], v[2:3]
	s_and_b32 s10, s10, vcc_lo
	s_delay_alu instid0(SALU_CYCLE_1)
	s_and_saveexec_b32 s17, s10
	s_cbranch_execz .LBB13_4
; %bb.2:
	s_clause 0x1
	s_load_b32 s12, s[0:1], 0x38
	s_load_b64 s[10:11], s[0:1], 0x18
	v_subrev_nc_u32_e32 v1, s2, v1
	v_mov_b32_e32 v10, v2
	v_mov_b32_e32 v4, v3
	;; [unrolled: 1-line block ×3, first 2 shown]
	s_delay_alu instid0(VALU_DEP_4) | instskip(NEXT) | instid1(VALU_DEP_1)
	v_add_nc_u32_e32 v1, 1, v1
	v_ashrrev_i32_e32 v9, 31, v1
	s_waitcnt lgkmcnt(0)
	s_sub_i32 s1, s12, s2
	s_mov_b64 s[12:13], 0
.LBB13_3:                               ; =>This Inner Loop Header: Depth=1
	v_lshlrev_b64 v[11:12], 2, v[3:4]
	v_ashrrev_i32_e32 v6, 31, v5
	v_lshlrev_b64 v[3:4], 3, v[3:4]
	s_add_u32 s18, s12, 1
	s_addc_u32 s19, s13, 0
	s_cmp_ge_i32 s18, s3
	v_add_co_u32 v11, vcc_lo, s10, v11
	v_add_co_ci_u32_e32 v12, vcc_lo, s11, v12, vcc_lo
	v_add_co_u32 v3, vcc_lo, s8, v3
	v_add_co_ci_u32_e32 v4, vcc_lo, s9, v4, vcc_lo
	global_load_b32 v13, v[11:12], off
	v_lshlrev_b64 v[11:12], 2, v[5:6]
	s_delay_alu instid0(VALU_DEP_1) | instskip(NEXT) | instid1(VALU_DEP_1)
	v_add_co_u32 v11, s0, s4, v11
	v_add_co_ci_u32_e64 v12, s0, s5, v12, s0
	s_cselect_b32 s0, -1, 0
	s_waitcnt vmcnt(0)
	v_add_nc_u32_e32 v13, s1, v13
	global_store_b32 v[11:12], v13, off
	global_load_b64 v[11:12], v[3:4], off
	v_add_co_u32 v13, vcc_lo, v1, s12
	v_add_co_ci_u32_e32 v14, vcc_lo, s13, v9, vcc_lo
	v_add_nc_u32_e32 v3, 1, v10
	s_mov_b64 s[12:13], s[18:19]
	s_delay_alu instid0(VALU_DEP_2) | instskip(SKIP_1) | instid1(VALU_DEP_3)
	v_cmp_le_i64_e32 vcc_lo, v[7:8], v[13:14]
	v_lshlrev_b64 v[13:14], 3, v[5:6]
	v_mov_b32_e32 v10, v3
	v_ashrrev_i32_e32 v4, 31, v3
	v_add_nc_u32_e32 v5, s14, v5
	s_or_b32 s0, vcc_lo, s0
	s_delay_alu instid0(VALU_DEP_4) | instskip(SKIP_2) | instid1(SALU_CYCLE_1)
	v_add_co_u32 v13, vcc_lo, s6, v13
	v_add_co_ci_u32_e32 v14, vcc_lo, s7, v14, vcc_lo
	s_and_b32 s0, exec_lo, s0
	s_or_b32 s16, s0, s16
	s_waitcnt vmcnt(0)
	global_store_b64 v[13:14], v[11:12], off
	s_and_not1_b32 exec_lo, exec_lo, s16
	s_cbranch_execnz .LBB13_3
.LBB13_4:
	s_or_b32 exec_lo, exec_lo, s17
	v_sub_nc_u32_e32 v5, v7, v2
	s_delay_alu instid0(VALU_DEP_1)
	v_cmp_gt_i32_e32 vcc_lo, s3, v5
	s_and_b32 exec_lo, exec_lo, vcc_lo
	s_cbranch_execz .LBB13_7
; %bb.5:
	v_mul_lo_u32 v2, s14, v5
	v_dual_mov_b32 v1, 0 :: v_dual_mov_b32 v6, -1
	s_mov_b32 s1, 0
	s_delay_alu instid0(VALU_DEP_2) | instskip(NEXT) | instid1(VALU_DEP_2)
	v_add3_u32 v3, v0, v2, s15
	v_mov_b32_e32 v2, v1
	.p2align	6
.LBB13_6:                               ; =>This Inner Loop Header: Depth=1
	s_delay_alu instid0(VALU_DEP_2) | instskip(SKIP_1) | instid1(VALU_DEP_2)
	v_ashrrev_i32_e32 v4, 31, v3
	v_add_nc_u32_e32 v5, 1, v5
	v_lshlrev_b64 v[7:8], 2, v[3:4]
	v_lshlrev_b64 v[9:10], 3, v[3:4]
	s_delay_alu instid0(VALU_DEP_3) | instskip(SKIP_1) | instid1(VALU_DEP_4)
	v_cmp_le_i32_e32 vcc_lo, s3, v5
	v_add_nc_u32_e32 v3, s14, v3
	v_add_co_u32 v7, s0, s4, v7
	s_delay_alu instid0(VALU_DEP_1) | instskip(SKIP_1) | instid1(VALU_DEP_1)
	v_add_co_ci_u32_e64 v8, s0, s5, v8, s0
	v_add_co_u32 v9, s0, s6, v9
	v_add_co_ci_u32_e64 v10, s0, s7, v10, s0
	s_or_b32 s1, vcc_lo, s1
	global_store_b32 v[7:8], v6, off
	global_store_b64 v[9:10], v[1:2], off
	s_and_not1_b32 exec_lo, exec_lo, s1
	s_cbranch_execnz .LBB13_6
.LBB13_7:
	s_nop 0
	s_sendmsg sendmsg(MSG_DEALLOC_VGPRS)
	s_endpgm
	.section	.rodata,"a",@progbits
	.p2align	6, 0x0
	.amdhsa_kernel _ZN9rocsparseL14csr2ell_kernelILj512E21rocsparse_complex_numIfEliEEvT2_PKT0_PKT1_PKS3_21rocsparse_index_base_S3_PS3_PS4_SC_
		.amdhsa_group_segment_fixed_size 0
		.amdhsa_private_segment_fixed_size 0
		.amdhsa_kernarg_size 60
		.amdhsa_user_sgpr_count 15
		.amdhsa_user_sgpr_dispatch_ptr 0
		.amdhsa_user_sgpr_queue_ptr 0
		.amdhsa_user_sgpr_kernarg_segment_ptr 1
		.amdhsa_user_sgpr_dispatch_id 0
		.amdhsa_user_sgpr_private_segment_size 0
		.amdhsa_wavefront_size32 1
		.amdhsa_uses_dynamic_stack 0
		.amdhsa_enable_private_segment 0
		.amdhsa_system_sgpr_workgroup_id_x 1
		.amdhsa_system_sgpr_workgroup_id_y 0
		.amdhsa_system_sgpr_workgroup_id_z 0
		.amdhsa_system_sgpr_workgroup_info 0
		.amdhsa_system_vgpr_workitem_id 0
		.amdhsa_next_free_vgpr 15
		.amdhsa_next_free_sgpr 20
		.amdhsa_reserve_vcc 1
		.amdhsa_float_round_mode_32 0
		.amdhsa_float_round_mode_16_64 0
		.amdhsa_float_denorm_mode_32 3
		.amdhsa_float_denorm_mode_16_64 3
		.amdhsa_dx10_clamp 1
		.amdhsa_ieee_mode 1
		.amdhsa_fp16_overflow 0
		.amdhsa_workgroup_processor_mode 1
		.amdhsa_memory_ordered 1
		.amdhsa_forward_progress 0
		.amdhsa_shared_vgpr_count 0
		.amdhsa_exception_fp_ieee_invalid_op 0
		.amdhsa_exception_fp_denorm_src 0
		.amdhsa_exception_fp_ieee_div_zero 0
		.amdhsa_exception_fp_ieee_overflow 0
		.amdhsa_exception_fp_ieee_underflow 0
		.amdhsa_exception_fp_ieee_inexact 0
		.amdhsa_exception_int_div_zero 0
	.end_amdhsa_kernel
	.section	.text._ZN9rocsparseL14csr2ell_kernelILj512E21rocsparse_complex_numIfEliEEvT2_PKT0_PKT1_PKS3_21rocsparse_index_base_S3_PS3_PS4_SC_,"axG",@progbits,_ZN9rocsparseL14csr2ell_kernelILj512E21rocsparse_complex_numIfEliEEvT2_PKT0_PKT1_PKS3_21rocsparse_index_base_S3_PS3_PS4_SC_,comdat
.Lfunc_end13:
	.size	_ZN9rocsparseL14csr2ell_kernelILj512E21rocsparse_complex_numIfEliEEvT2_PKT0_PKT1_PKS3_21rocsparse_index_base_S3_PS3_PS4_SC_, .Lfunc_end13-_ZN9rocsparseL14csr2ell_kernelILj512E21rocsparse_complex_numIfEliEEvT2_PKT0_PKT1_PKS3_21rocsparse_index_base_S3_PS3_PS4_SC_
                                        ; -- End function
	.section	.AMDGPU.csdata,"",@progbits
; Kernel info:
; codeLenInByte = 628
; NumSgprs: 22
; NumVgprs: 15
; ScratchSize: 0
; MemoryBound: 0
; FloatMode: 240
; IeeeMode: 1
; LDSByteSize: 0 bytes/workgroup (compile time only)
; SGPRBlocks: 2
; VGPRBlocks: 1
; NumSGPRsForWavesPerEU: 22
; NumVGPRsForWavesPerEU: 15
; Occupancy: 16
; WaveLimiterHint : 0
; COMPUTE_PGM_RSRC2:SCRATCH_EN: 0
; COMPUTE_PGM_RSRC2:USER_SGPR: 15
; COMPUTE_PGM_RSRC2:TRAP_HANDLER: 0
; COMPUTE_PGM_RSRC2:TGID_X_EN: 1
; COMPUTE_PGM_RSRC2:TGID_Y_EN: 0
; COMPUTE_PGM_RSRC2:TGID_Z_EN: 0
; COMPUTE_PGM_RSRC2:TIDIG_COMP_CNT: 0
	.section	.text._ZN9rocsparseL14csr2ell_kernelILj512E21rocsparse_complex_numIfEilEEvT2_PKT0_PKT1_PKS3_21rocsparse_index_base_S3_PS3_PS4_SC_,"axG",@progbits,_ZN9rocsparseL14csr2ell_kernelILj512E21rocsparse_complex_numIfEilEEvT2_PKT0_PKT1_PKS3_21rocsparse_index_base_S3_PS3_PS4_SC_,comdat
	.globl	_ZN9rocsparseL14csr2ell_kernelILj512E21rocsparse_complex_numIfEilEEvT2_PKT0_PKT1_PKS3_21rocsparse_index_base_S3_PS3_PS4_SC_ ; -- Begin function _ZN9rocsparseL14csr2ell_kernelILj512E21rocsparse_complex_numIfEilEEvT2_PKT0_PKT1_PKS3_21rocsparse_index_base_S3_PS3_PS4_SC_
	.p2align	8
	.type	_ZN9rocsparseL14csr2ell_kernelILj512E21rocsparse_complex_numIfEilEEvT2_PKT0_PKT1_PKS3_21rocsparse_index_base_S3_PS3_PS4_SC_,@function
_ZN9rocsparseL14csr2ell_kernelILj512E21rocsparse_complex_numIfEilEEvT2_PKT0_PKT1_PKS3_21rocsparse_index_base_S3_PS3_PS4_SC_: ; @_ZN9rocsparseL14csr2ell_kernelILj512E21rocsparse_complex_numIfEilEEvT2_PKT0_PKT1_PKS3_21rocsparse_index_base_S3_PS3_PS4_SC_
; %bb.0:
	s_load_b256 s[4:11], s[0:1], 0x0
	s_lshl_b32 s16, s15, 9
	v_mov_b32_e32 v2, 0
	v_or_b32_e32 v1, s16, v0
	s_mov_b32 s2, exec_lo
	s_waitcnt lgkmcnt(0)
	s_delay_alu instid0(VALU_DEP_1)
	v_cmpx_gt_i64_e64 s[4:5], v[1:2]
	s_cbranch_execz .LBB14_7
; %bb.1:
	v_lshlrev_b64 v[2:3], 2, v[1:2]
	s_delay_alu instid0(VALU_DEP_1) | instskip(NEXT) | instid1(VALU_DEP_2)
	v_add_co_u32 v2, vcc_lo, s8, v2
	v_add_co_ci_u32_e32 v3, vcc_lo, s9, v3, vcc_lo
	global_load_b64 v[3:4], v[2:3], off
	s_clause 0x2
	s_load_b128 s[12:15], s[0:1], 0x28
	s_load_b32 s9, s[0:1], 0x20
	s_load_b64 s[2:3], s[0:1], 0x38
	s_waitcnt lgkmcnt(0)
	v_cmp_gt_i64_e64 s5, s[12:13], 0
	s_waitcnt vmcnt(0)
	v_cmp_lt_i32_e32 vcc_lo, v3, v4
	v_subrev_nc_u32_e32 v3, s9, v3
	v_subrev_nc_u32_e32 v8, s9, v4
	s_delay_alu instid0(VALU_DEP_4) | instskip(NEXT) | instid1(SALU_CYCLE_1)
	s_and_b32 s8, s5, vcc_lo
	s_and_saveexec_b32 s5, s8
	s_cbranch_execz .LBB14_4
; %bb.2:
	s_load_b32 s0, s[0:1], 0x40
	v_ashrrev_i32_e32 v4, 31, v3
	s_mov_b32 s8, 0
	s_delay_alu instid0(VALU_DEP_1) | instskip(NEXT) | instid1(VALU_DEP_1)
	v_lshlrev_b64 v[6:7], 3, v[3:4]
	v_add_co_u32 v4, vcc_lo, s10, v6
	s_delay_alu instid0(VALU_DEP_2)
	v_add_co_ci_u32_e32 v5, vcc_lo, s11, v7, vcc_lo
	v_add_co_u32 v6, vcc_lo, s6, v6
	v_add_co_ci_u32_e32 v7, vcc_lo, s7, v7, vcc_lo
	s_waitcnt lgkmcnt(0)
	s_sub_u32 s6, s0, s9
	s_subb_u32 s7, 0, 0
	s_mov_b64 s[0:1], 1
	s_set_inst_prefetch_distance 0x1
	.p2align	6
.LBB14_3:                               ; =>This Inner Loop Header: Depth=1
	global_load_b64 v[9:10], v[4:5], off
	v_ashrrev_i32_e32 v2, 31, v1
	v_cmp_ge_i64_e64 s9, s[0:1], s[12:13]
	s_delay_alu instid0(VALU_DEP_2) | instskip(SKIP_2) | instid1(VALU_DEP_3)
	v_lshlrev_b64 v[11:12], 3, v[1:2]
	v_add_nc_u32_e32 v2, s0, v3
	v_add_nc_u32_e32 v1, s4, v1
	v_add_co_u32 v13, vcc_lo, s14, v11
	s_delay_alu instid0(VALU_DEP_4)
	v_add_co_ci_u32_e32 v14, vcc_lo, s15, v12, vcc_lo
	s_waitcnt vmcnt(0)
	v_add_co_u32 v9, vcc_lo, s6, v9
	v_add_co_ci_u32_e32 v10, vcc_lo, s7, v10, vcc_lo
	v_add_co_u32 v4, vcc_lo, v4, 8
	v_add_co_ci_u32_e32 v5, vcc_lo, 0, v5, vcc_lo
	global_store_b64 v[13:14], v[9:10], off
	global_load_b64 v[9:10], v[6:7], off
	v_cmp_ge_i32_e32 vcc_lo, v2, v8
	s_or_b32 s9, vcc_lo, s9
	v_add_co_u32 v11, vcc_lo, s2, v11
	v_add_co_ci_u32_e32 v12, vcc_lo, s3, v12, vcc_lo
	v_add_co_u32 v6, vcc_lo, v6, 8
	s_add_u32 s0, s0, 1
	s_addc_u32 s1, s1, 0
	v_add_co_ci_u32_e32 v7, vcc_lo, 0, v7, vcc_lo
	s_and_b32 s9, exec_lo, s9
	s_delay_alu instid0(SALU_CYCLE_1)
	s_or_b32 s8, s9, s8
	s_waitcnt vmcnt(0)
	global_store_b64 v[11:12], v[9:10], off
	s_and_not1_b32 exec_lo, exec_lo, s8
	s_cbranch_execnz .LBB14_3
.LBB14_4:
	s_set_inst_prefetch_distance 0x2
	s_or_b32 exec_lo, exec_lo, s5
	v_sub_nc_u32_e32 v1, v8, v3
	s_delay_alu instid0(VALU_DEP_1) | instskip(NEXT) | instid1(VALU_DEP_1)
	v_ashrrev_i32_e32 v2, 31, v1
	v_cmp_gt_i64_e32 vcc_lo, s[12:13], v[1:2]
	s_and_b32 exec_lo, exec_lo, vcc_lo
	s_cbranch_execz .LBB14_7
; %bb.5:
	v_mul_lo_u32 v6, v1, s4
	v_mov_b32_e32 v5, 0
	v_mov_b32_e32 v3, -1
	s_mov_b32 s1, 0
	s_delay_alu instid0(VALU_DEP_3) | instskip(NEXT) | instid1(VALU_DEP_3)
	v_add3_u32 v7, v0, v6, s16
	v_mov_b32_e32 v6, v5
	s_delay_alu instid0(VALU_DEP_3)
	v_mov_b32_e32 v4, v3
	.p2align	6
.LBB14_6:                               ; =>This Inner Loop Header: Depth=1
	s_delay_alu instid0(VALU_DEP_3) | instskip(SKIP_2) | instid1(VALU_DEP_3)
	v_ashrrev_i32_e32 v8, 31, v7
	v_add_co_u32 v1, vcc_lo, v1, 1
	v_add_co_ci_u32_e32 v2, vcc_lo, 0, v2, vcc_lo
	v_lshlrev_b64 v[8:9], 3, v[7:8]
	v_add_nc_u32_e32 v7, s4, v7
	s_delay_alu instid0(VALU_DEP_3) | instskip(NEXT) | instid1(VALU_DEP_3)
	v_cmp_le_i64_e32 vcc_lo, s[12:13], v[1:2]
	v_add_co_u32 v10, s0, s14, v8
	s_delay_alu instid0(VALU_DEP_1) | instskip(SKIP_1) | instid1(VALU_DEP_1)
	v_add_co_ci_u32_e64 v11, s0, s15, v9, s0
	v_add_co_u32 v8, s0, s2, v8
	v_add_co_ci_u32_e64 v9, s0, s3, v9, s0
	s_or_b32 s1, vcc_lo, s1
	global_store_b64 v[10:11], v[3:4], off
	global_store_b64 v[8:9], v[5:6], off
	s_and_not1_b32 exec_lo, exec_lo, s1
	s_cbranch_execnz .LBB14_6
.LBB14_7:
	s_nop 0
	s_sendmsg sendmsg(MSG_DEALLOC_VGPRS)
	s_endpgm
	.section	.rodata,"a",@progbits
	.p2align	6, 0x0
	.amdhsa_kernel _ZN9rocsparseL14csr2ell_kernelILj512E21rocsparse_complex_numIfEilEEvT2_PKT0_PKT1_PKS3_21rocsparse_index_base_S3_PS3_PS4_SC_
		.amdhsa_group_segment_fixed_size 0
		.amdhsa_private_segment_fixed_size 0
		.amdhsa_kernarg_size 68
		.amdhsa_user_sgpr_count 15
		.amdhsa_user_sgpr_dispatch_ptr 0
		.amdhsa_user_sgpr_queue_ptr 0
		.amdhsa_user_sgpr_kernarg_segment_ptr 1
		.amdhsa_user_sgpr_dispatch_id 0
		.amdhsa_user_sgpr_private_segment_size 0
		.amdhsa_wavefront_size32 1
		.amdhsa_uses_dynamic_stack 0
		.amdhsa_enable_private_segment 0
		.amdhsa_system_sgpr_workgroup_id_x 1
		.amdhsa_system_sgpr_workgroup_id_y 0
		.amdhsa_system_sgpr_workgroup_id_z 0
		.amdhsa_system_sgpr_workgroup_info 0
		.amdhsa_system_vgpr_workitem_id 0
		.amdhsa_next_free_vgpr 15
		.amdhsa_next_free_sgpr 17
		.amdhsa_reserve_vcc 1
		.amdhsa_float_round_mode_32 0
		.amdhsa_float_round_mode_16_64 0
		.amdhsa_float_denorm_mode_32 3
		.amdhsa_float_denorm_mode_16_64 3
		.amdhsa_dx10_clamp 1
		.amdhsa_ieee_mode 1
		.amdhsa_fp16_overflow 0
		.amdhsa_workgroup_processor_mode 1
		.amdhsa_memory_ordered 1
		.amdhsa_forward_progress 0
		.amdhsa_shared_vgpr_count 0
		.amdhsa_exception_fp_ieee_invalid_op 0
		.amdhsa_exception_fp_denorm_src 0
		.amdhsa_exception_fp_ieee_div_zero 0
		.amdhsa_exception_fp_ieee_overflow 0
		.amdhsa_exception_fp_ieee_underflow 0
		.amdhsa_exception_fp_ieee_inexact 0
		.amdhsa_exception_int_div_zero 0
	.end_amdhsa_kernel
	.section	.text._ZN9rocsparseL14csr2ell_kernelILj512E21rocsparse_complex_numIfEilEEvT2_PKT0_PKT1_PKS3_21rocsparse_index_base_S3_PS3_PS4_SC_,"axG",@progbits,_ZN9rocsparseL14csr2ell_kernelILj512E21rocsparse_complex_numIfEilEEvT2_PKT0_PKT1_PKS3_21rocsparse_index_base_S3_PS3_PS4_SC_,comdat
.Lfunc_end14:
	.size	_ZN9rocsparseL14csr2ell_kernelILj512E21rocsparse_complex_numIfEilEEvT2_PKT0_PKT1_PKS3_21rocsparse_index_base_S3_PS3_PS4_SC_, .Lfunc_end14-_ZN9rocsparseL14csr2ell_kernelILj512E21rocsparse_complex_numIfEilEEvT2_PKT0_PKT1_PKS3_21rocsparse_index_base_S3_PS3_PS4_SC_
                                        ; -- End function
	.section	.AMDGPU.csdata,"",@progbits
; Kernel info:
; codeLenInByte = 588
; NumSgprs: 19
; NumVgprs: 15
; ScratchSize: 0
; MemoryBound: 0
; FloatMode: 240
; IeeeMode: 1
; LDSByteSize: 0 bytes/workgroup (compile time only)
; SGPRBlocks: 2
; VGPRBlocks: 1
; NumSGPRsForWavesPerEU: 19
; NumVGPRsForWavesPerEU: 15
; Occupancy: 16
; WaveLimiterHint : 0
; COMPUTE_PGM_RSRC2:SCRATCH_EN: 0
; COMPUTE_PGM_RSRC2:USER_SGPR: 15
; COMPUTE_PGM_RSRC2:TRAP_HANDLER: 0
; COMPUTE_PGM_RSRC2:TGID_X_EN: 1
; COMPUTE_PGM_RSRC2:TGID_Y_EN: 0
; COMPUTE_PGM_RSRC2:TGID_Z_EN: 0
; COMPUTE_PGM_RSRC2:TIDIG_COMP_CNT: 0
	.section	.text._ZN9rocsparseL14csr2ell_kernelILj512E21rocsparse_complex_numIfEllEEvT2_PKT0_PKT1_PKS3_21rocsparse_index_base_S3_PS3_PS4_SC_,"axG",@progbits,_ZN9rocsparseL14csr2ell_kernelILj512E21rocsparse_complex_numIfEllEEvT2_PKT0_PKT1_PKS3_21rocsparse_index_base_S3_PS3_PS4_SC_,comdat
	.globl	_ZN9rocsparseL14csr2ell_kernelILj512E21rocsparse_complex_numIfEllEEvT2_PKT0_PKT1_PKS3_21rocsparse_index_base_S3_PS3_PS4_SC_ ; -- Begin function _ZN9rocsparseL14csr2ell_kernelILj512E21rocsparse_complex_numIfEllEEvT2_PKT0_PKT1_PKS3_21rocsparse_index_base_S3_PS3_PS4_SC_
	.p2align	8
	.type	_ZN9rocsparseL14csr2ell_kernelILj512E21rocsparse_complex_numIfEllEEvT2_PKT0_PKT1_PKS3_21rocsparse_index_base_S3_PS3_PS4_SC_,@function
_ZN9rocsparseL14csr2ell_kernelILj512E21rocsparse_complex_numIfEllEEvT2_PKT0_PKT1_PKS3_21rocsparse_index_base_S3_PS3_PS4_SC_: ; @_ZN9rocsparseL14csr2ell_kernelILj512E21rocsparse_complex_numIfEllEEvT2_PKT0_PKT1_PKS3_21rocsparse_index_base_S3_PS3_PS4_SC_
; %bb.0:
	s_load_b256 s[4:11], s[0:1], 0x0
	v_lshl_or_b32 v6, s15, 9, v0
	v_mov_b32_e32 v7, 0
	s_mov_b32 s2, exec_lo
	s_waitcnt lgkmcnt(0)
	s_delay_alu instid0(VALU_DEP_1)
	v_cmpx_gt_i64_e64 s[4:5], v[6:7]
	s_cbranch_execz .LBB15_7
; %bb.1:
	v_lshlrev_b64 v[4:5], 3, v[6:7]
	s_mov_b32 s16, 0
	s_delay_alu instid0(VALU_DEP_1) | instskip(NEXT) | instid1(VALU_DEP_2)
	v_add_co_u32 v0, vcc_lo, s8, v4
	v_add_co_ci_u32_e32 v1, vcc_lo, s9, v5, vcc_lo
	global_load_b128 v[0:3], v[0:1], off
	s_clause 0x2
	s_load_b32 s8, s[0:1], 0x20
	s_load_b128 s[12:15], s[0:1], 0x28
	s_load_b64 s[2:3], s[0:1], 0x38
	s_waitcnt lgkmcnt(0)
	v_cmp_gt_i64_e64 s9, s[12:13], 0
	s_waitcnt vmcnt(0)
	v_sub_co_u32 v8, vcc_lo, v0, s8
	v_subrev_co_ci_u32_e32 v11, vcc_lo, 0, v1, vcc_lo
	v_sub_co_u32 v1, vcc_lo, v2, s8
	v_subrev_co_ci_u32_e32 v2, vcc_lo, 0, v3, vcc_lo
	s_delay_alu instid0(VALU_DEP_4) | instskip(NEXT) | instid1(VALU_DEP_1)
	v_ashrrev_i32_e32 v9, 31, v8
	v_cmp_gt_i64_e32 vcc_lo, v[1:2], v[8:9]
	s_and_b32 s9, s9, vcc_lo
	s_delay_alu instid0(SALU_CYCLE_1)
	s_and_saveexec_b32 s17, s9
	s_cbranch_execz .LBB15_4
; %bb.2:
	s_load_b32 s0, s[0:1], 0x40
	v_subrev_nc_u32_e32 v0, s8, v0
	v_mov_b32_e32 v10, v9
	v_mov_b32_e32 v12, v8
	s_delay_alu instid0(VALU_DEP_3) | instskip(NEXT) | instid1(VALU_DEP_1)
	v_dual_mov_b32 v9, v8 :: v_dual_add_nc_u32 v0, 1, v0
	v_ashrrev_i32_e32 v3, 31, v0
	s_waitcnt lgkmcnt(0)
	s_sub_u32 s1, s0, s8
	s_subb_u32 s18, 0, 0
	s_mov_b64 s[8:9], 1
.LBB15_3:                               ; =>This Inner Loop Header: Depth=1
	v_lshlrev_b64 v[9:10], 3, v[9:10]
	v_ashrrev_i32_e32 v7, 31, v6
	v_cmp_ge_i64_e64 s19, s[8:9], s[12:13]
	s_delay_alu instid0(VALU_DEP_2) | instskip(NEXT) | instid1(VALU_DEP_4)
	v_lshlrev_b64 v[15:16], 3, v[6:7]
	v_add_co_u32 v13, vcc_lo, s10, v9
	v_add_co_ci_u32_e32 v14, vcc_lo, s11, v10, vcc_lo
	v_add_co_u32 v9, vcc_lo, s6, v9
	s_delay_alu instid0(VALU_DEP_4)
	v_add_co_u32 v17, s0, s14, v15
	global_load_b64 v[13:14], v[13:14], off
	v_add_co_ci_u32_e64 v18, s0, s15, v16, s0
	v_add_co_ci_u32_e32 v10, vcc_lo, s7, v10, vcc_lo
	v_add_co_u32 v7, vcc_lo, v0, s8
	v_add_nc_u32_e32 v6, s4, v6
	s_waitcnt vmcnt(0)
	v_add_co_u32 v13, s0, s1, v13
	s_delay_alu instid0(VALU_DEP_1) | instskip(SKIP_1) | instid1(VALU_DEP_1)
	v_add_co_ci_u32_e64 v14, s0, s18, v14, s0
	v_add_co_u32 v15, s0, s2, v15
	v_add_co_ci_u32_e64 v16, s0, s3, v16, s0
	global_store_b64 v[17:18], v[13:14], off
	global_load_b64 v[13:14], v[9:10], off
	v_add_co_ci_u32_e32 v9, vcc_lo, s9, v3, vcc_lo
	v_add_co_u32 v17, vcc_lo, v7, -1
	s_delay_alu instid0(VALU_DEP_2) | instskip(SKIP_1) | instid1(VALU_DEP_2)
	v_add_co_ci_u32_e32 v18, vcc_lo, -1, v9, vcc_lo
	v_add_nc_u32_e32 v9, 1, v12
	v_cmp_le_i64_e32 vcc_lo, v[1:2], v[17:18]
	s_delay_alu instid0(VALU_DEP_2)
	v_ashrrev_i32_e32 v10, 31, v9
	v_mov_b32_e32 v12, v9
	s_or_b32 s0, vcc_lo, s19
	s_add_u32 s8, s8, 1
	s_addc_u32 s9, s9, 0
	s_and_b32 s0, exec_lo, s0
	s_delay_alu instid0(SALU_CYCLE_1)
	s_or_b32 s16, s0, s16
	s_waitcnt vmcnt(0)
	global_store_b64 v[15:16], v[13:14], off
	s_and_not1_b32 exec_lo, exec_lo, s16
	s_cbranch_execnz .LBB15_3
.LBB15_4:
	s_or_b32 exec_lo, exec_lo, s17
	v_sub_co_u32 v0, vcc_lo, v1, v8
	v_sub_co_ci_u32_e32 v1, vcc_lo, v2, v11, vcc_lo
	s_delay_alu instid0(VALU_DEP_1)
	v_cmp_gt_i64_e32 vcc_lo, s[12:13], v[0:1]
	s_and_b32 exec_lo, exec_lo, vcc_lo
	s_cbranch_execz .LBB15_7
; %bb.5:
	v_mul_lo_u32 v2, s5, v0
	v_mul_lo_u32 v3, s4, v1
	v_mad_u64_u32 v[6:7], null, s4, v0, 0
	s_lshl_b64 s[4:5], s[4:5], 3
	s_mov_b32 s1, 0
	s_delay_alu instid0(VALU_DEP_1) | instskip(NEXT) | instid1(VALU_DEP_1)
	v_add3_u32 v7, v7, v3, v2
	v_lshlrev_b64 v[7:8], 3, v[6:7]
	v_mov_b32_e32 v6, 0
	v_mov_b32_e32 v2, -1
	s_delay_alu instid0(VALU_DEP_3) | instskip(NEXT) | instid1(VALU_DEP_3)
	v_add_co_u32 v4, vcc_lo, v7, v4
	v_mov_b32_e32 v7, v6
	s_delay_alu instid0(VALU_DEP_3)
	v_mov_b32_e32 v3, v2
	v_add_co_ci_u32_e32 v5, vcc_lo, v8, v5, vcc_lo
	.p2align	6
.LBB15_6:                               ; =>This Inner Loop Header: Depth=1
	s_delay_alu instid0(VALU_DEP_4) | instskip(NEXT) | instid1(VALU_DEP_2)
	v_add_co_u32 v8, vcc_lo, s14, v4
	v_add_co_ci_u32_e32 v9, vcc_lo, s15, v5, vcc_lo
	v_add_co_u32 v0, vcc_lo, v0, 1
	v_add_co_ci_u32_e32 v1, vcc_lo, 0, v1, vcc_lo
	;; [unrolled: 2-line block ×3, first 2 shown]
	s_delay_alu instid0(VALU_DEP_3) | instskip(SKIP_1) | instid1(VALU_DEP_1)
	v_cmp_le_i64_e32 vcc_lo, s[12:13], v[0:1]
	v_add_co_u32 v4, s0, v4, s4
	v_add_co_ci_u32_e64 v5, s0, s5, v5, s0
	global_store_b64 v[8:9], v[2:3], off
	global_store_b64 v[10:11], v[6:7], off
	s_or_b32 s1, vcc_lo, s1
	s_delay_alu instid0(SALU_CYCLE_1)
	s_and_not1_b32 exec_lo, exec_lo, s1
	s_cbranch_execnz .LBB15_6
.LBB15_7:
	s_nop 0
	s_sendmsg sendmsg(MSG_DEALLOC_VGPRS)
	s_endpgm
	.section	.rodata,"a",@progbits
	.p2align	6, 0x0
	.amdhsa_kernel _ZN9rocsparseL14csr2ell_kernelILj512E21rocsparse_complex_numIfEllEEvT2_PKT0_PKT1_PKS3_21rocsparse_index_base_S3_PS3_PS4_SC_
		.amdhsa_group_segment_fixed_size 0
		.amdhsa_private_segment_fixed_size 0
		.amdhsa_kernarg_size 68
		.amdhsa_user_sgpr_count 15
		.amdhsa_user_sgpr_dispatch_ptr 0
		.amdhsa_user_sgpr_queue_ptr 0
		.amdhsa_user_sgpr_kernarg_segment_ptr 1
		.amdhsa_user_sgpr_dispatch_id 0
		.amdhsa_user_sgpr_private_segment_size 0
		.amdhsa_wavefront_size32 1
		.amdhsa_uses_dynamic_stack 0
		.amdhsa_enable_private_segment 0
		.amdhsa_system_sgpr_workgroup_id_x 1
		.amdhsa_system_sgpr_workgroup_id_y 0
		.amdhsa_system_sgpr_workgroup_id_z 0
		.amdhsa_system_sgpr_workgroup_info 0
		.amdhsa_system_vgpr_workitem_id 0
		.amdhsa_next_free_vgpr 19
		.amdhsa_next_free_sgpr 20
		.amdhsa_reserve_vcc 1
		.amdhsa_float_round_mode_32 0
		.amdhsa_float_round_mode_16_64 0
		.amdhsa_float_denorm_mode_32 3
		.amdhsa_float_denorm_mode_16_64 3
		.amdhsa_dx10_clamp 1
		.amdhsa_ieee_mode 1
		.amdhsa_fp16_overflow 0
		.amdhsa_workgroup_processor_mode 1
		.amdhsa_memory_ordered 1
		.amdhsa_forward_progress 0
		.amdhsa_shared_vgpr_count 0
		.amdhsa_exception_fp_ieee_invalid_op 0
		.amdhsa_exception_fp_denorm_src 0
		.amdhsa_exception_fp_ieee_div_zero 0
		.amdhsa_exception_fp_ieee_overflow 0
		.amdhsa_exception_fp_ieee_underflow 0
		.amdhsa_exception_fp_ieee_inexact 0
		.amdhsa_exception_int_div_zero 0
	.end_amdhsa_kernel
	.section	.text._ZN9rocsparseL14csr2ell_kernelILj512E21rocsparse_complex_numIfEllEEvT2_PKT0_PKT1_PKS3_21rocsparse_index_base_S3_PS3_PS4_SC_,"axG",@progbits,_ZN9rocsparseL14csr2ell_kernelILj512E21rocsparse_complex_numIfEllEEvT2_PKT0_PKT1_PKS3_21rocsparse_index_base_S3_PS3_PS4_SC_,comdat
.Lfunc_end15:
	.size	_ZN9rocsparseL14csr2ell_kernelILj512E21rocsparse_complex_numIfEllEEvT2_PKT0_PKT1_PKS3_21rocsparse_index_base_S3_PS3_PS4_SC_, .Lfunc_end15-_ZN9rocsparseL14csr2ell_kernelILj512E21rocsparse_complex_numIfEllEEvT2_PKT0_PKT1_PKS3_21rocsparse_index_base_S3_PS3_PS4_SC_
                                        ; -- End function
	.section	.AMDGPU.csdata,"",@progbits
; Kernel info:
; codeLenInByte = 692
; NumSgprs: 22
; NumVgprs: 19
; ScratchSize: 0
; MemoryBound: 0
; FloatMode: 240
; IeeeMode: 1
; LDSByteSize: 0 bytes/workgroup (compile time only)
; SGPRBlocks: 2
; VGPRBlocks: 2
; NumSGPRsForWavesPerEU: 22
; NumVGPRsForWavesPerEU: 19
; Occupancy: 16
; WaveLimiterHint : 0
; COMPUTE_PGM_RSRC2:SCRATCH_EN: 0
; COMPUTE_PGM_RSRC2:USER_SGPR: 15
; COMPUTE_PGM_RSRC2:TRAP_HANDLER: 0
; COMPUTE_PGM_RSRC2:TGID_X_EN: 1
; COMPUTE_PGM_RSRC2:TGID_Y_EN: 0
; COMPUTE_PGM_RSRC2:TGID_Z_EN: 0
; COMPUTE_PGM_RSRC2:TIDIG_COMP_CNT: 0
	.section	.text._ZN9rocsparseL14csr2ell_kernelILj512E21rocsparse_complex_numIdEiiEEvT2_PKT0_PKT1_PKS3_21rocsparse_index_base_S3_PS3_PS4_SC_,"axG",@progbits,_ZN9rocsparseL14csr2ell_kernelILj512E21rocsparse_complex_numIdEiiEEvT2_PKT0_PKT1_PKS3_21rocsparse_index_base_S3_PS3_PS4_SC_,comdat
	.globl	_ZN9rocsparseL14csr2ell_kernelILj512E21rocsparse_complex_numIdEiiEEvT2_PKT0_PKT1_PKS3_21rocsparse_index_base_S3_PS3_PS4_SC_ ; -- Begin function _ZN9rocsparseL14csr2ell_kernelILj512E21rocsparse_complex_numIdEiiEEvT2_PKT0_PKT1_PKS3_21rocsparse_index_base_S3_PS3_PS4_SC_
	.p2align	8
	.type	_ZN9rocsparseL14csr2ell_kernelILj512E21rocsparse_complex_numIdEiiEEvT2_PKT0_PKT1_PKS3_21rocsparse_index_base_S3_PS3_PS4_SC_,@function
_ZN9rocsparseL14csr2ell_kernelILj512E21rocsparse_complex_numIdEiiEEvT2_PKT0_PKT1_PKS3_21rocsparse_index_base_S3_PS3_PS4_SC_: ; @_ZN9rocsparseL14csr2ell_kernelILj512E21rocsparse_complex_numIdEiiEEvT2_PKT0_PKT1_PKS3_21rocsparse_index_base_S3_PS3_PS4_SC_
; %bb.0:
	s_load_b32 s12, s[0:1], 0x0
	s_lshl_b32 s13, s15, 9
	s_mov_b32 s2, exec_lo
	v_or_b32_e32 v1, s13, v0
	s_waitcnt lgkmcnt(0)
	s_delay_alu instid0(VALU_DEP_1)
	v_cmpx_gt_i32_e64 s12, v1
	s_cbranch_execz .LBB16_7
; %bb.1:
	s_clause 0x1
	s_load_b128 s[8:11], s[0:1], 0x8
	s_load_b64 s[2:3], s[0:1], 0x20
	v_ashrrev_i32_e32 v2, 31, v1
	s_load_b128 s[4:7], s[0:1], 0x28
	s_delay_alu instid0(VALU_DEP_1) | instskip(SKIP_1) | instid1(VALU_DEP_1)
	v_lshlrev_b64 v[2:3], 2, v[1:2]
	s_waitcnt lgkmcnt(0)
	v_add_co_u32 v2, vcc_lo, s10, v2
	s_delay_alu instid0(VALU_DEP_2)
	v_add_co_ci_u32_e32 v3, vcc_lo, s11, v3, vcc_lo
	s_cmp_gt_i32 s3, 0
	s_mov_b32 s10, 0
	s_cselect_b32 s11, -1, 0
	global_load_b64 v[4:5], v[2:3], off
	s_waitcnt vmcnt(0)
	v_cmp_lt_i32_e32 vcc_lo, v4, v5
	v_subrev_nc_u32_e32 v3, s2, v4
	v_subrev_nc_u32_e32 v8, s2, v5
	s_and_b32 s14, s11, vcc_lo
	s_delay_alu instid0(SALU_CYCLE_1)
	s_and_saveexec_b32 s11, s14
	s_cbranch_execz .LBB16_4
; %bb.2:
	s_clause 0x1
	s_load_b64 s[14:15], s[0:1], 0x18
	s_load_b32 s0, s[0:1], 0x38
	v_ashrrev_i32_e32 v4, 31, v3
	s_mov_b32 s1, 1
	s_delay_alu instid0(VALU_DEP_1) | instskip(SKIP_2) | instid1(VALU_DEP_2)
	v_lshlrev_b64 v[5:6], 2, v[3:4]
	v_lshlrev_b64 v[9:10], 4, v[3:4]
	s_waitcnt lgkmcnt(0)
	v_add_co_u32 v4, vcc_lo, s14, v5
	s_delay_alu instid0(VALU_DEP_3) | instskip(NEXT) | instid1(VALU_DEP_3)
	v_add_co_ci_u32_e32 v5, vcc_lo, s15, v6, vcc_lo
	v_add_co_u32 v6, vcc_lo, s8, v9
	s_delay_alu instid0(VALU_DEP_4)
	v_add_co_ci_u32_e32 v7, vcc_lo, s9, v10, vcc_lo
	s_sub_i32 s0, s0, s2
	s_set_inst_prefetch_distance 0x1
	.p2align	6
.LBB16_3:                               ; =>This Inner Loop Header: Depth=1
	global_load_b32 v11, v[4:5], off
	v_ashrrev_i32_e32 v2, 31, v1
	v_add_nc_u32_e32 v13, s1, v3
	s_cmp_ge_i32 s1, s3
	s_cselect_b32 s2, -1, 0
	s_delay_alu instid0(VALU_DEP_2) | instskip(SKIP_1) | instid1(VALU_DEP_1)
	v_lshlrev_b64 v[9:10], 2, v[1:2]
	s_add_i32 s1, s1, 1
	v_add_co_u32 v9, vcc_lo, s4, v9
	s_delay_alu instid0(VALU_DEP_2)
	v_add_co_ci_u32_e32 v10, vcc_lo, s5, v10, vcc_lo
	v_add_co_u32 v4, vcc_lo, v4, 4
	v_add_co_ci_u32_e32 v5, vcc_lo, 0, v5, vcc_lo
	v_cmp_ge_i32_e32 vcc_lo, v13, v8
	v_lshlrev_b64 v[13:14], 4, v[1:2]
	v_add_nc_u32_e32 v1, s12, v1
	s_or_b32 s2, vcc_lo, s2
	s_delay_alu instid0(VALU_DEP_2) | instskip(NEXT) | instid1(VALU_DEP_3)
	v_add_co_u32 v13, vcc_lo, s6, v13
	v_add_co_ci_u32_e32 v14, vcc_lo, s7, v14, vcc_lo
	s_and_b32 s2, exec_lo, s2
	s_delay_alu instid0(SALU_CYCLE_1)
	s_or_b32 s10, s2, s10
	s_waitcnt vmcnt(0)
	v_add_nc_u32_e32 v11, s0, v11
	global_store_b32 v[9:10], v11, off
	global_load_b128 v[9:12], v[6:7], off
	v_add_co_u32 v6, vcc_lo, v6, 16
	v_add_co_ci_u32_e32 v7, vcc_lo, 0, v7, vcc_lo
	s_waitcnt vmcnt(0)
	global_store_b128 v[13:14], v[9:12], off
	s_and_not1_b32 exec_lo, exec_lo, s10
	s_cbranch_execnz .LBB16_3
.LBB16_4:
	s_set_inst_prefetch_distance 0x2
	s_or_b32 exec_lo, exec_lo, s11
	v_sub_nc_u32_e32 v7, v8, v3
	s_delay_alu instid0(VALU_DEP_1)
	v_cmp_gt_i32_e32 vcc_lo, s3, v7
	s_and_b32 exec_lo, exec_lo, vcc_lo
	s_cbranch_execz .LBB16_7
; %bb.5:
	v_mul_lo_u32 v4, s12, v7
	v_dual_mov_b32 v1, 0 :: v_dual_mov_b32 v8, -1
	s_mov_b32 s1, 0
	s_delay_alu instid0(VALU_DEP_1) | instskip(SKIP_1) | instid1(VALU_DEP_4)
	v_mov_b32_e32 v2, v1
	v_mov_b32_e32 v3, v1
	v_add3_u32 v5, v0, v4, s13
	v_mov_b32_e32 v4, v1
	.p2align	6
.LBB16_6:                               ; =>This Inner Loop Header: Depth=1
	s_delay_alu instid0(VALU_DEP_2) | instskip(SKIP_1) | instid1(VALU_DEP_2)
	v_ashrrev_i32_e32 v6, 31, v5
	v_add_nc_u32_e32 v7, 1, v7
	v_lshlrev_b64 v[9:10], 2, v[5:6]
	v_lshlrev_b64 v[11:12], 4, v[5:6]
	s_delay_alu instid0(VALU_DEP_3) | instskip(SKIP_1) | instid1(VALU_DEP_4)
	v_cmp_le_i32_e32 vcc_lo, s3, v7
	v_add_nc_u32_e32 v5, s12, v5
	v_add_co_u32 v9, s0, s4, v9
	s_delay_alu instid0(VALU_DEP_1) | instskip(SKIP_1) | instid1(VALU_DEP_1)
	v_add_co_ci_u32_e64 v10, s0, s5, v10, s0
	v_add_co_u32 v11, s0, s6, v11
	v_add_co_ci_u32_e64 v12, s0, s7, v12, s0
	s_or_b32 s1, vcc_lo, s1
	global_store_b32 v[9:10], v8, off
	global_store_b128 v[11:12], v[1:4], off
	s_and_not1_b32 exec_lo, exec_lo, s1
	s_cbranch_execnz .LBB16_6
.LBB16_7:
	s_nop 0
	s_sendmsg sendmsg(MSG_DEALLOC_VGPRS)
	s_endpgm
	.section	.rodata,"a",@progbits
	.p2align	6, 0x0
	.amdhsa_kernel _ZN9rocsparseL14csr2ell_kernelILj512E21rocsparse_complex_numIdEiiEEvT2_PKT0_PKT1_PKS3_21rocsparse_index_base_S3_PS3_PS4_SC_
		.amdhsa_group_segment_fixed_size 0
		.amdhsa_private_segment_fixed_size 0
		.amdhsa_kernarg_size 60
		.amdhsa_user_sgpr_count 15
		.amdhsa_user_sgpr_dispatch_ptr 0
		.amdhsa_user_sgpr_queue_ptr 0
		.amdhsa_user_sgpr_kernarg_segment_ptr 1
		.amdhsa_user_sgpr_dispatch_id 0
		.amdhsa_user_sgpr_private_segment_size 0
		.amdhsa_wavefront_size32 1
		.amdhsa_uses_dynamic_stack 0
		.amdhsa_enable_private_segment 0
		.amdhsa_system_sgpr_workgroup_id_x 1
		.amdhsa_system_sgpr_workgroup_id_y 0
		.amdhsa_system_sgpr_workgroup_id_z 0
		.amdhsa_system_sgpr_workgroup_info 0
		.amdhsa_system_vgpr_workitem_id 0
		.amdhsa_next_free_vgpr 15
		.amdhsa_next_free_sgpr 16
		.amdhsa_reserve_vcc 1
		.amdhsa_float_round_mode_32 0
		.amdhsa_float_round_mode_16_64 0
		.amdhsa_float_denorm_mode_32 3
		.amdhsa_float_denorm_mode_16_64 3
		.amdhsa_dx10_clamp 1
		.amdhsa_ieee_mode 1
		.amdhsa_fp16_overflow 0
		.amdhsa_workgroup_processor_mode 1
		.amdhsa_memory_ordered 1
		.amdhsa_forward_progress 0
		.amdhsa_shared_vgpr_count 0
		.amdhsa_exception_fp_ieee_invalid_op 0
		.amdhsa_exception_fp_denorm_src 0
		.amdhsa_exception_fp_ieee_div_zero 0
		.amdhsa_exception_fp_ieee_overflow 0
		.amdhsa_exception_fp_ieee_underflow 0
		.amdhsa_exception_fp_ieee_inexact 0
		.amdhsa_exception_int_div_zero 0
	.end_amdhsa_kernel
	.section	.text._ZN9rocsparseL14csr2ell_kernelILj512E21rocsparse_complex_numIdEiiEEvT2_PKT0_PKT1_PKS3_21rocsparse_index_base_S3_PS3_PS4_SC_,"axG",@progbits,_ZN9rocsparseL14csr2ell_kernelILj512E21rocsparse_complex_numIdEiiEEvT2_PKT0_PKT1_PKS3_21rocsparse_index_base_S3_PS3_PS4_SC_,comdat
.Lfunc_end16:
	.size	_ZN9rocsparseL14csr2ell_kernelILj512E21rocsparse_complex_numIdEiiEEvT2_PKT0_PKT1_PKS3_21rocsparse_index_base_S3_PS3_PS4_SC_, .Lfunc_end16-_ZN9rocsparseL14csr2ell_kernelILj512E21rocsparse_complex_numIdEiiEEvT2_PKT0_PKT1_PKS3_21rocsparse_index_base_S3_PS3_PS4_SC_
                                        ; -- End function
	.section	.AMDGPU.csdata,"",@progbits
; Kernel info:
; codeLenInByte = 608
; NumSgprs: 18
; NumVgprs: 15
; ScratchSize: 0
; MemoryBound: 0
; FloatMode: 240
; IeeeMode: 1
; LDSByteSize: 0 bytes/workgroup (compile time only)
; SGPRBlocks: 2
; VGPRBlocks: 1
; NumSGPRsForWavesPerEU: 18
; NumVGPRsForWavesPerEU: 15
; Occupancy: 16
; WaveLimiterHint : 0
; COMPUTE_PGM_RSRC2:SCRATCH_EN: 0
; COMPUTE_PGM_RSRC2:USER_SGPR: 15
; COMPUTE_PGM_RSRC2:TRAP_HANDLER: 0
; COMPUTE_PGM_RSRC2:TGID_X_EN: 1
; COMPUTE_PGM_RSRC2:TGID_Y_EN: 0
; COMPUTE_PGM_RSRC2:TGID_Z_EN: 0
; COMPUTE_PGM_RSRC2:TIDIG_COMP_CNT: 0
	.section	.text._ZN9rocsparseL14csr2ell_kernelILj512E21rocsparse_complex_numIdEliEEvT2_PKT0_PKT1_PKS3_21rocsparse_index_base_S3_PS3_PS4_SC_,"axG",@progbits,_ZN9rocsparseL14csr2ell_kernelILj512E21rocsparse_complex_numIdEliEEvT2_PKT0_PKT1_PKS3_21rocsparse_index_base_S3_PS3_PS4_SC_,comdat
	.globl	_ZN9rocsparseL14csr2ell_kernelILj512E21rocsparse_complex_numIdEliEEvT2_PKT0_PKT1_PKS3_21rocsparse_index_base_S3_PS3_PS4_SC_ ; -- Begin function _ZN9rocsparseL14csr2ell_kernelILj512E21rocsparse_complex_numIdEliEEvT2_PKT0_PKT1_PKS3_21rocsparse_index_base_S3_PS3_PS4_SC_
	.p2align	8
	.type	_ZN9rocsparseL14csr2ell_kernelILj512E21rocsparse_complex_numIdEliEEvT2_PKT0_PKT1_PKS3_21rocsparse_index_base_S3_PS3_PS4_SC_,@function
_ZN9rocsparseL14csr2ell_kernelILj512E21rocsparse_complex_numIdEliEEvT2_PKT0_PKT1_PKS3_21rocsparse_index_base_S3_PS3_PS4_SC_: ; @_ZN9rocsparseL14csr2ell_kernelILj512E21rocsparse_complex_numIdEliEEvT2_PKT0_PKT1_PKS3_21rocsparse_index_base_S3_PS3_PS4_SC_
; %bb.0:
	s_load_b32 s14, s[0:1], 0x0
	s_lshl_b32 s15, s15, 9
	s_mov_b32 s2, exec_lo
	v_or_b32_e32 v5, s15, v0
	s_waitcnt lgkmcnt(0)
	s_delay_alu instid0(VALU_DEP_1)
	v_cmpx_gt_i32_e64 s14, v5
	s_cbranch_execz .LBB17_7
; %bb.1:
	s_clause 0x1
	s_load_b128 s[8:11], s[0:1], 0x8
	s_load_b64 s[2:3], s[0:1], 0x20
	v_ashrrev_i32_e32 v6, 31, v5
	s_load_b128 s[4:7], s[0:1], 0x28
	s_mov_b32 s16, 0
	s_delay_alu instid0(VALU_DEP_1) | instskip(SKIP_1) | instid1(VALU_DEP_1)
	v_lshlrev_b64 v[1:2], 3, v[5:6]
	s_waitcnt lgkmcnt(0)
	v_add_co_u32 v1, vcc_lo, s10, v1
	s_delay_alu instid0(VALU_DEP_2)
	v_add_co_ci_u32_e32 v2, vcc_lo, s11, v2, vcc_lo
	s_cmp_gt_i32 s3, 0
	s_cselect_b32 s10, -1, 0
	global_load_b128 v[1:4], v[1:2], off
	s_waitcnt vmcnt(0)
	v_sub_co_u32 v2, null, v1, s2
	v_sub_co_u32 v7, vcc_lo, v3, s2
	v_subrev_co_ci_u32_e32 v8, vcc_lo, 0, v4, vcc_lo
	s_delay_alu instid0(VALU_DEP_3) | instskip(NEXT) | instid1(VALU_DEP_1)
	v_ashrrev_i32_e32 v3, 31, v2
	v_cmp_gt_i64_e32 vcc_lo, v[7:8], v[2:3]
	s_and_b32 s10, s10, vcc_lo
	s_delay_alu instid0(SALU_CYCLE_1)
	s_and_saveexec_b32 s17, s10
	s_cbranch_execz .LBB17_4
; %bb.2:
	s_clause 0x1
	s_load_b32 s12, s[0:1], 0x38
	s_load_b64 s[10:11], s[0:1], 0x18
	v_subrev_nc_u32_e32 v1, s2, v1
	v_mov_b32_e32 v10, v2
	v_mov_b32_e32 v4, v3
	;; [unrolled: 1-line block ×3, first 2 shown]
	s_delay_alu instid0(VALU_DEP_4) | instskip(NEXT) | instid1(VALU_DEP_1)
	v_add_nc_u32_e32 v1, 1, v1
	v_ashrrev_i32_e32 v9, 31, v1
	s_waitcnt lgkmcnt(0)
	s_sub_i32 s1, s12, s2
	s_mov_b64 s[12:13], 0
.LBB17_3:                               ; =>This Inner Loop Header: Depth=1
	v_lshlrev_b64 v[11:12], 2, v[3:4]
	v_ashrrev_i32_e32 v6, 31, v5
	v_lshlrev_b64 v[3:4], 4, v[3:4]
	s_add_u32 s18, s12, 1
	s_addc_u32 s19, s13, 0
	s_cmp_ge_i32 s18, s3
	v_add_co_u32 v11, vcc_lo, s10, v11
	v_add_co_ci_u32_e32 v12, vcc_lo, s11, v12, vcc_lo
	v_add_co_u32 v3, vcc_lo, s8, v3
	v_add_co_ci_u32_e32 v4, vcc_lo, s9, v4, vcc_lo
	global_load_b32 v13, v[11:12], off
	v_lshlrev_b64 v[11:12], 2, v[5:6]
	v_add_co_u32 v15, vcc_lo, v1, s12
	v_add_co_ci_u32_e32 v16, vcc_lo, s13, v9, vcc_lo
	s_mov_b64 s[12:13], s[18:19]
	s_delay_alu instid0(VALU_DEP_3) | instskip(NEXT) | instid1(VALU_DEP_1)
	v_add_co_u32 v11, s0, s4, v11
	v_add_co_ci_u32_e64 v12, s0, s5, v12, s0
	s_delay_alu instid0(VALU_DEP_3) | instskip(SKIP_4) | instid1(VALU_DEP_2)
	v_cmp_le_i64_e32 vcc_lo, v[7:8], v[15:16]
	v_lshlrev_b64 v[15:16], 4, v[5:6]
	s_cselect_b32 s0, -1, 0
	v_add_nc_u32_e32 v5, s14, v5
	s_or_b32 s0, vcc_lo, s0
	v_add_co_u32 v15, vcc_lo, s6, v15
	s_delay_alu instid0(VALU_DEP_3) | instskip(SKIP_1) | instid1(SALU_CYCLE_1)
	v_add_co_ci_u32_e32 v16, vcc_lo, s7, v16, vcc_lo
	s_and_b32 s0, exec_lo, s0
	s_or_b32 s16, s0, s16
	s_waitcnt vmcnt(0)
	v_add_nc_u32_e32 v13, s1, v13
	global_store_b32 v[11:12], v13, off
	global_load_b128 v[11:14], v[3:4], off
	v_add_nc_u32_e32 v3, 1, v10
	s_delay_alu instid0(VALU_DEP_1)
	v_mov_b32_e32 v10, v3
	v_ashrrev_i32_e32 v4, 31, v3
	s_waitcnt vmcnt(0)
	global_store_b128 v[15:16], v[11:14], off
	s_and_not1_b32 exec_lo, exec_lo, s16
	s_cbranch_execnz .LBB17_3
.LBB17_4:
	s_or_b32 exec_lo, exec_lo, s17
	v_sub_nc_u32_e32 v7, v7, v2
	s_delay_alu instid0(VALU_DEP_1)
	v_cmp_gt_i32_e32 vcc_lo, s3, v7
	s_and_b32 exec_lo, exec_lo, vcc_lo
	s_cbranch_execz .LBB17_7
; %bb.5:
	v_mul_lo_u32 v4, s14, v7
	v_dual_mov_b32 v1, 0 :: v_dual_mov_b32 v8, -1
	s_mov_b32 s1, 0
	s_delay_alu instid0(VALU_DEP_1) | instskip(SKIP_1) | instid1(VALU_DEP_4)
	v_mov_b32_e32 v2, v1
	v_mov_b32_e32 v3, v1
	v_add3_u32 v5, v0, v4, s15
	v_mov_b32_e32 v4, v1
	.p2align	6
.LBB17_6:                               ; =>This Inner Loop Header: Depth=1
	s_delay_alu instid0(VALU_DEP_2) | instskip(SKIP_1) | instid1(VALU_DEP_2)
	v_ashrrev_i32_e32 v6, 31, v5
	v_add_nc_u32_e32 v7, 1, v7
	v_lshlrev_b64 v[9:10], 2, v[5:6]
	v_lshlrev_b64 v[11:12], 4, v[5:6]
	s_delay_alu instid0(VALU_DEP_3) | instskip(SKIP_1) | instid1(VALU_DEP_4)
	v_cmp_le_i32_e32 vcc_lo, s3, v7
	v_add_nc_u32_e32 v5, s14, v5
	v_add_co_u32 v9, s0, s4, v9
	s_delay_alu instid0(VALU_DEP_1) | instskip(SKIP_1) | instid1(VALU_DEP_1)
	v_add_co_ci_u32_e64 v10, s0, s5, v10, s0
	v_add_co_u32 v11, s0, s6, v11
	v_add_co_ci_u32_e64 v12, s0, s7, v12, s0
	s_or_b32 s1, vcc_lo, s1
	global_store_b32 v[9:10], v8, off
	global_store_b128 v[11:12], v[1:4], off
	s_and_not1_b32 exec_lo, exec_lo, s1
	s_cbranch_execnz .LBB17_6
.LBB17_7:
	s_nop 0
	s_sendmsg sendmsg(MSG_DEALLOC_VGPRS)
	s_endpgm
	.section	.rodata,"a",@progbits
	.p2align	6, 0x0
	.amdhsa_kernel _ZN9rocsparseL14csr2ell_kernelILj512E21rocsparse_complex_numIdEliEEvT2_PKT0_PKT1_PKS3_21rocsparse_index_base_S3_PS3_PS4_SC_
		.amdhsa_group_segment_fixed_size 0
		.amdhsa_private_segment_fixed_size 0
		.amdhsa_kernarg_size 60
		.amdhsa_user_sgpr_count 15
		.amdhsa_user_sgpr_dispatch_ptr 0
		.amdhsa_user_sgpr_queue_ptr 0
		.amdhsa_user_sgpr_kernarg_segment_ptr 1
		.amdhsa_user_sgpr_dispatch_id 0
		.amdhsa_user_sgpr_private_segment_size 0
		.amdhsa_wavefront_size32 1
		.amdhsa_uses_dynamic_stack 0
		.amdhsa_enable_private_segment 0
		.amdhsa_system_sgpr_workgroup_id_x 1
		.amdhsa_system_sgpr_workgroup_id_y 0
		.amdhsa_system_sgpr_workgroup_id_z 0
		.amdhsa_system_sgpr_workgroup_info 0
		.amdhsa_system_vgpr_workitem_id 0
		.amdhsa_next_free_vgpr 17
		.amdhsa_next_free_sgpr 20
		.amdhsa_reserve_vcc 1
		.amdhsa_float_round_mode_32 0
		.amdhsa_float_round_mode_16_64 0
		.amdhsa_float_denorm_mode_32 3
		.amdhsa_float_denorm_mode_16_64 3
		.amdhsa_dx10_clamp 1
		.amdhsa_ieee_mode 1
		.amdhsa_fp16_overflow 0
		.amdhsa_workgroup_processor_mode 1
		.amdhsa_memory_ordered 1
		.amdhsa_forward_progress 0
		.amdhsa_shared_vgpr_count 0
		.amdhsa_exception_fp_ieee_invalid_op 0
		.amdhsa_exception_fp_denorm_src 0
		.amdhsa_exception_fp_ieee_div_zero 0
		.amdhsa_exception_fp_ieee_overflow 0
		.amdhsa_exception_fp_ieee_underflow 0
		.amdhsa_exception_fp_ieee_inexact 0
		.amdhsa_exception_int_div_zero 0
	.end_amdhsa_kernel
	.section	.text._ZN9rocsparseL14csr2ell_kernelILj512E21rocsparse_complex_numIdEliEEvT2_PKT0_PKT1_PKS3_21rocsparse_index_base_S3_PS3_PS4_SC_,"axG",@progbits,_ZN9rocsparseL14csr2ell_kernelILj512E21rocsparse_complex_numIdEliEEvT2_PKT0_PKT1_PKS3_21rocsparse_index_base_S3_PS3_PS4_SC_,comdat
.Lfunc_end17:
	.size	_ZN9rocsparseL14csr2ell_kernelILj512E21rocsparse_complex_numIdEliEEvT2_PKT0_PKT1_PKS3_21rocsparse_index_base_S3_PS3_PS4_SC_, .Lfunc_end17-_ZN9rocsparseL14csr2ell_kernelILj512E21rocsparse_complex_numIdEliEEvT2_PKT0_PKT1_PKS3_21rocsparse_index_base_S3_PS3_PS4_SC_
                                        ; -- End function
	.section	.AMDGPU.csdata,"",@progbits
; Kernel info:
; codeLenInByte = 640
; NumSgprs: 22
; NumVgprs: 17
; ScratchSize: 0
; MemoryBound: 0
; FloatMode: 240
; IeeeMode: 1
; LDSByteSize: 0 bytes/workgroup (compile time only)
; SGPRBlocks: 2
; VGPRBlocks: 2
; NumSGPRsForWavesPerEU: 22
; NumVGPRsForWavesPerEU: 17
; Occupancy: 16
; WaveLimiterHint : 0
; COMPUTE_PGM_RSRC2:SCRATCH_EN: 0
; COMPUTE_PGM_RSRC2:USER_SGPR: 15
; COMPUTE_PGM_RSRC2:TRAP_HANDLER: 0
; COMPUTE_PGM_RSRC2:TGID_X_EN: 1
; COMPUTE_PGM_RSRC2:TGID_Y_EN: 0
; COMPUTE_PGM_RSRC2:TGID_Z_EN: 0
; COMPUTE_PGM_RSRC2:TIDIG_COMP_CNT: 0
	.section	.text._ZN9rocsparseL14csr2ell_kernelILj512E21rocsparse_complex_numIdEilEEvT2_PKT0_PKT1_PKS3_21rocsparse_index_base_S3_PS3_PS4_SC_,"axG",@progbits,_ZN9rocsparseL14csr2ell_kernelILj512E21rocsparse_complex_numIdEilEEvT2_PKT0_PKT1_PKS3_21rocsparse_index_base_S3_PS3_PS4_SC_,comdat
	.globl	_ZN9rocsparseL14csr2ell_kernelILj512E21rocsparse_complex_numIdEilEEvT2_PKT0_PKT1_PKS3_21rocsparse_index_base_S3_PS3_PS4_SC_ ; -- Begin function _ZN9rocsparseL14csr2ell_kernelILj512E21rocsparse_complex_numIdEilEEvT2_PKT0_PKT1_PKS3_21rocsparse_index_base_S3_PS3_PS4_SC_
	.p2align	8
	.type	_ZN9rocsparseL14csr2ell_kernelILj512E21rocsparse_complex_numIdEilEEvT2_PKT0_PKT1_PKS3_21rocsparse_index_base_S3_PS3_PS4_SC_,@function
_ZN9rocsparseL14csr2ell_kernelILj512E21rocsparse_complex_numIdEilEEvT2_PKT0_PKT1_PKS3_21rocsparse_index_base_S3_PS3_PS4_SC_: ; @_ZN9rocsparseL14csr2ell_kernelILj512E21rocsparse_complex_numIdEilEEvT2_PKT0_PKT1_PKS3_21rocsparse_index_base_S3_PS3_PS4_SC_
; %bb.0:
	s_load_b256 s[4:11], s[0:1], 0x0
	s_lshl_b32 s16, s15, 9
	v_mov_b32_e32 v2, 0
	v_or_b32_e32 v1, s16, v0
	s_mov_b32 s2, exec_lo
	s_waitcnt lgkmcnt(0)
	s_delay_alu instid0(VALU_DEP_1)
	v_cmpx_gt_i64_e64 s[4:5], v[1:2]
	s_cbranch_execz .LBB18_7
; %bb.1:
	v_lshlrev_b64 v[2:3], 2, v[1:2]
	s_delay_alu instid0(VALU_DEP_1) | instskip(NEXT) | instid1(VALU_DEP_2)
	v_add_co_u32 v2, vcc_lo, s8, v2
	v_add_co_ci_u32_e32 v3, vcc_lo, s9, v3, vcc_lo
	global_load_b64 v[3:4], v[2:3], off
	s_clause 0x2
	s_load_b128 s[12:15], s[0:1], 0x28
	s_load_b32 s9, s[0:1], 0x20
	s_load_b64 s[2:3], s[0:1], 0x38
	s_waitcnt lgkmcnt(0)
	v_cmp_gt_i64_e64 s5, s[12:13], 0
	s_waitcnt vmcnt(0)
	v_cmp_lt_i32_e32 vcc_lo, v3, v4
	v_subrev_nc_u32_e32 v3, s9, v3
	v_subrev_nc_u32_e32 v8, s9, v4
	s_delay_alu instid0(VALU_DEP_4) | instskip(NEXT) | instid1(SALU_CYCLE_1)
	s_and_b32 s8, s5, vcc_lo
	s_and_saveexec_b32 s5, s8
	s_cbranch_execz .LBB18_4
; %bb.2:
	s_load_b32 s0, s[0:1], 0x40
	v_ashrrev_i32_e32 v4, 31, v3
	s_mov_b32 s8, 0
	s_delay_alu instid0(VALU_DEP_1) | instskip(SKIP_1) | instid1(VALU_DEP_2)
	v_lshlrev_b64 v[5:6], 3, v[3:4]
	v_lshlrev_b64 v[9:10], 4, v[3:4]
	v_add_co_u32 v4, vcc_lo, s10, v5
	s_delay_alu instid0(VALU_DEP_3) | instskip(NEXT) | instid1(VALU_DEP_3)
	v_add_co_ci_u32_e32 v5, vcc_lo, s11, v6, vcc_lo
	v_add_co_u32 v6, vcc_lo, s6, v9
	s_delay_alu instid0(VALU_DEP_4)
	v_add_co_ci_u32_e32 v7, vcc_lo, s7, v10, vcc_lo
	s_waitcnt lgkmcnt(0)
	s_sub_u32 s6, s0, s9
	s_subb_u32 s7, 0, 0
	s_mov_b64 s[0:1], 1
	s_set_inst_prefetch_distance 0x1
	.p2align	6
.LBB18_3:                               ; =>This Inner Loop Header: Depth=1
	global_load_b64 v[9:10], v[4:5], off
	v_ashrrev_i32_e32 v2, 31, v1
	v_add_nc_u32_e32 v13, s0, v3
	v_cmp_ge_i64_e64 s9, s[0:1], s[12:13]
	s_delay_alu instid0(VALU_DEP_3) | instskip(NEXT) | instid1(VALU_DEP_1)
	v_lshlrev_b64 v[11:12], 3, v[1:2]
	v_add_co_u32 v11, vcc_lo, s14, v11
	s_delay_alu instid0(VALU_DEP_2)
	v_add_co_ci_u32_e32 v12, vcc_lo, s15, v12, vcc_lo
	s_waitcnt vmcnt(0)
	v_add_co_u32 v9, vcc_lo, s6, v9
	v_add_co_ci_u32_e32 v10, vcc_lo, s7, v10, vcc_lo
	v_add_co_u32 v4, vcc_lo, v4, 8
	v_add_co_ci_u32_e32 v5, vcc_lo, 0, v5, vcc_lo
	global_store_b64 v[11:12], v[9:10], off
	global_load_b128 v[9:12], v[6:7], off
	v_cmp_ge_i32_e32 vcc_lo, v13, v8
	v_lshlrev_b64 v[13:14], 4, v[1:2]
	v_add_nc_u32_e32 v1, s4, v1
	s_or_b32 s9, vcc_lo, s9
	s_add_u32 s0, s0, 1
	s_delay_alu instid0(VALU_DEP_2) | instskip(NEXT) | instid1(VALU_DEP_3)
	v_add_co_u32 v13, vcc_lo, s2, v13
	v_add_co_ci_u32_e32 v14, vcc_lo, s3, v14, vcc_lo
	v_add_co_u32 v6, vcc_lo, v6, 16
	s_addc_u32 s1, s1, 0
	v_add_co_ci_u32_e32 v7, vcc_lo, 0, v7, vcc_lo
	s_and_b32 s9, exec_lo, s9
	s_delay_alu instid0(SALU_CYCLE_1)
	s_or_b32 s8, s9, s8
	s_waitcnt vmcnt(0)
	global_store_b128 v[13:14], v[9:12], off
	s_and_not1_b32 exec_lo, exec_lo, s8
	s_cbranch_execnz .LBB18_3
.LBB18_4:
	s_set_inst_prefetch_distance 0x2
	s_or_b32 exec_lo, exec_lo, s5
	v_sub_nc_u32_e32 v5, v8, v3
	s_delay_alu instid0(VALU_DEP_1) | instskip(NEXT) | instid1(VALU_DEP_1)
	v_ashrrev_i32_e32 v6, 31, v5
	v_cmp_gt_i64_e32 vcc_lo, s[12:13], v[5:6]
	s_and_b32 exec_lo, exec_lo, vcc_lo
	s_cbranch_execz .LBB18_7
; %bb.5:
	v_mul_lo_u32 v4, v5, s4
	v_mov_b32_e32 v1, 0
	v_mov_b32_e32 v7, -1
	s_mov_b32 s1, 0
	s_delay_alu instid0(VALU_DEP_2) | instskip(NEXT) | instid1(VALU_DEP_2)
	v_mov_b32_e32 v2, v1
	v_dual_mov_b32 v8, v7 :: v_dual_mov_b32 v3, v1
	v_add3_u32 v9, v0, v4, s16
	v_mov_b32_e32 v4, v1
	.p2align	6
.LBB18_6:                               ; =>This Inner Loop Header: Depth=1
	s_delay_alu instid0(VALU_DEP_2) | instskip(SKIP_2) | instid1(VALU_DEP_3)
	v_ashrrev_i32_e32 v10, 31, v9
	v_add_co_u32 v5, vcc_lo, v5, 1
	v_add_co_ci_u32_e32 v6, vcc_lo, 0, v6, vcc_lo
	v_lshlrev_b64 v[11:12], 3, v[9:10]
	v_lshlrev_b64 v[13:14], 4, v[9:10]
	v_add_nc_u32_e32 v9, s4, v9
	s_delay_alu instid0(VALU_DEP_4) | instskip(NEXT) | instid1(VALU_DEP_4)
	v_cmp_le_i64_e32 vcc_lo, s[12:13], v[5:6]
	v_add_co_u32 v10, s0, s14, v11
	s_delay_alu instid0(VALU_DEP_1) | instskip(SKIP_1) | instid1(VALU_DEP_1)
	v_add_co_ci_u32_e64 v11, s0, s15, v12, s0
	v_add_co_u32 v12, s0, s2, v13
	v_add_co_ci_u32_e64 v13, s0, s3, v14, s0
	s_or_b32 s1, vcc_lo, s1
	global_store_b64 v[10:11], v[7:8], off
	global_store_b128 v[12:13], v[1:4], off
	s_and_not1_b32 exec_lo, exec_lo, s1
	s_cbranch_execnz .LBB18_6
.LBB18_7:
	s_nop 0
	s_sendmsg sendmsg(MSG_DEALLOC_VGPRS)
	s_endpgm
	.section	.rodata,"a",@progbits
	.p2align	6, 0x0
	.amdhsa_kernel _ZN9rocsparseL14csr2ell_kernelILj512E21rocsparse_complex_numIdEilEEvT2_PKT0_PKT1_PKS3_21rocsparse_index_base_S3_PS3_PS4_SC_
		.amdhsa_group_segment_fixed_size 0
		.amdhsa_private_segment_fixed_size 0
		.amdhsa_kernarg_size 68
		.amdhsa_user_sgpr_count 15
		.amdhsa_user_sgpr_dispatch_ptr 0
		.amdhsa_user_sgpr_queue_ptr 0
		.amdhsa_user_sgpr_kernarg_segment_ptr 1
		.amdhsa_user_sgpr_dispatch_id 0
		.amdhsa_user_sgpr_private_segment_size 0
		.amdhsa_wavefront_size32 1
		.amdhsa_uses_dynamic_stack 0
		.amdhsa_enable_private_segment 0
		.amdhsa_system_sgpr_workgroup_id_x 1
		.amdhsa_system_sgpr_workgroup_id_y 0
		.amdhsa_system_sgpr_workgroup_id_z 0
		.amdhsa_system_sgpr_workgroup_info 0
		.amdhsa_system_vgpr_workitem_id 0
		.amdhsa_next_free_vgpr 15
		.amdhsa_next_free_sgpr 17
		.amdhsa_reserve_vcc 1
		.amdhsa_float_round_mode_32 0
		.amdhsa_float_round_mode_16_64 0
		.amdhsa_float_denorm_mode_32 3
		.amdhsa_float_denorm_mode_16_64 3
		.amdhsa_dx10_clamp 1
		.amdhsa_ieee_mode 1
		.amdhsa_fp16_overflow 0
		.amdhsa_workgroup_processor_mode 1
		.amdhsa_memory_ordered 1
		.amdhsa_forward_progress 0
		.amdhsa_shared_vgpr_count 0
		.amdhsa_exception_fp_ieee_invalid_op 0
		.amdhsa_exception_fp_denorm_src 0
		.amdhsa_exception_fp_ieee_div_zero 0
		.amdhsa_exception_fp_ieee_overflow 0
		.amdhsa_exception_fp_ieee_underflow 0
		.amdhsa_exception_fp_ieee_inexact 0
		.amdhsa_exception_int_div_zero 0
	.end_amdhsa_kernel
	.section	.text._ZN9rocsparseL14csr2ell_kernelILj512E21rocsparse_complex_numIdEilEEvT2_PKT0_PKT1_PKS3_21rocsparse_index_base_S3_PS3_PS4_SC_,"axG",@progbits,_ZN9rocsparseL14csr2ell_kernelILj512E21rocsparse_complex_numIdEilEEvT2_PKT0_PKT1_PKS3_21rocsparse_index_base_S3_PS3_PS4_SC_,comdat
.Lfunc_end18:
	.size	_ZN9rocsparseL14csr2ell_kernelILj512E21rocsparse_complex_numIdEilEEvT2_PKT0_PKT1_PKS3_21rocsparse_index_base_S3_PS3_PS4_SC_, .Lfunc_end18-_ZN9rocsparseL14csr2ell_kernelILj512E21rocsparse_complex_numIdEilEEvT2_PKT0_PKT1_PKS3_21rocsparse_index_base_S3_PS3_PS4_SC_
                                        ; -- End function
	.section	.AMDGPU.csdata,"",@progbits
; Kernel info:
; codeLenInByte = 624
; NumSgprs: 19
; NumVgprs: 15
; ScratchSize: 0
; MemoryBound: 0
; FloatMode: 240
; IeeeMode: 1
; LDSByteSize: 0 bytes/workgroup (compile time only)
; SGPRBlocks: 2
; VGPRBlocks: 1
; NumSGPRsForWavesPerEU: 19
; NumVGPRsForWavesPerEU: 15
; Occupancy: 16
; WaveLimiterHint : 0
; COMPUTE_PGM_RSRC2:SCRATCH_EN: 0
; COMPUTE_PGM_RSRC2:USER_SGPR: 15
; COMPUTE_PGM_RSRC2:TRAP_HANDLER: 0
; COMPUTE_PGM_RSRC2:TGID_X_EN: 1
; COMPUTE_PGM_RSRC2:TGID_Y_EN: 0
; COMPUTE_PGM_RSRC2:TGID_Z_EN: 0
; COMPUTE_PGM_RSRC2:TIDIG_COMP_CNT: 0
	.section	.text._ZN9rocsparseL14csr2ell_kernelILj512E21rocsparse_complex_numIdEllEEvT2_PKT0_PKT1_PKS3_21rocsparse_index_base_S3_PS3_PS4_SC_,"axG",@progbits,_ZN9rocsparseL14csr2ell_kernelILj512E21rocsparse_complex_numIdEllEEvT2_PKT0_PKT1_PKS3_21rocsparse_index_base_S3_PS3_PS4_SC_,comdat
	.globl	_ZN9rocsparseL14csr2ell_kernelILj512E21rocsparse_complex_numIdEllEEvT2_PKT0_PKT1_PKS3_21rocsparse_index_base_S3_PS3_PS4_SC_ ; -- Begin function _ZN9rocsparseL14csr2ell_kernelILj512E21rocsparse_complex_numIdEllEEvT2_PKT0_PKT1_PKS3_21rocsparse_index_base_S3_PS3_PS4_SC_
	.p2align	8
	.type	_ZN9rocsparseL14csr2ell_kernelILj512E21rocsparse_complex_numIdEllEEvT2_PKT0_PKT1_PKS3_21rocsparse_index_base_S3_PS3_PS4_SC_,@function
_ZN9rocsparseL14csr2ell_kernelILj512E21rocsparse_complex_numIdEllEEvT2_PKT0_PKT1_PKS3_21rocsparse_index_base_S3_PS3_PS4_SC_: ; @_ZN9rocsparseL14csr2ell_kernelILj512E21rocsparse_complex_numIdEllEEvT2_PKT0_PKT1_PKS3_21rocsparse_index_base_S3_PS3_PS4_SC_
; %bb.0:
	s_load_b256 s[4:11], s[0:1], 0x0
	v_lshl_or_b32 v6, s15, 9, v0
	v_mov_b32_e32 v7, 0
	s_mov_b32 s2, exec_lo
	s_waitcnt lgkmcnt(0)
	s_delay_alu instid0(VALU_DEP_1)
	v_cmpx_gt_i64_e64 s[4:5], v[6:7]
	s_cbranch_execz .LBB19_7
; %bb.1:
	v_lshlrev_b64 v[4:5], 3, v[6:7]
	s_mov_b32 s16, 0
	s_delay_alu instid0(VALU_DEP_1) | instskip(NEXT) | instid1(VALU_DEP_2)
	v_add_co_u32 v0, vcc_lo, s8, v4
	v_add_co_ci_u32_e32 v1, vcc_lo, s9, v5, vcc_lo
	global_load_b128 v[0:3], v[0:1], off
	s_clause 0x2
	s_load_b32 s8, s[0:1], 0x20
	s_load_b128 s[12:15], s[0:1], 0x28
	s_load_b64 s[2:3], s[0:1], 0x38
	s_waitcnt lgkmcnt(0)
	v_cmp_gt_i64_e64 s9, s[12:13], 0
	s_waitcnt vmcnt(0)
	v_sub_co_u32 v8, vcc_lo, v0, s8
	v_subrev_co_ci_u32_e32 v14, vcc_lo, 0, v1, vcc_lo
	v_sub_co_u32 v1, vcc_lo, v2, s8
	v_subrev_co_ci_u32_e32 v2, vcc_lo, 0, v3, vcc_lo
	s_delay_alu instid0(VALU_DEP_4) | instskip(NEXT) | instid1(VALU_DEP_1)
	v_ashrrev_i32_e32 v9, 31, v8
	v_cmp_gt_i64_e32 vcc_lo, v[1:2], v[8:9]
	s_and_b32 s9, s9, vcc_lo
	s_delay_alu instid0(SALU_CYCLE_1)
	s_and_saveexec_b32 s17, s9
	s_cbranch_execz .LBB19_4
; %bb.2:
	s_load_b32 s0, s[0:1], 0x40
	v_subrev_nc_u32_e32 v0, s8, v0
	v_dual_mov_b32 v10, v6 :: v_dual_mov_b32 v13, v9
	v_mov_b32_e32 v12, v8
	s_delay_alu instid0(VALU_DEP_3) | instskip(NEXT) | instid1(VALU_DEP_1)
	v_dual_mov_b32 v9, v8 :: v_dual_add_nc_u32 v0, 1, v0
	v_ashrrev_i32_e32 v3, 31, v0
	s_waitcnt lgkmcnt(0)
	s_sub_u32 s1, s0, s8
	s_subb_u32 s18, 0, 0
	s_mov_b64 s[8:9], 1
.LBB19_3:                               ; =>This Inner Loop Header: Depth=1
	v_lshlrev_b64 v[15:16], 3, v[12:13]
	v_ashrrev_i32_e32 v11, 31, v10
	v_lshlrev_b64 v[12:13], 4, v[12:13]
	v_cmp_ge_i64_e64 s19, s[8:9], s[12:13]
	s_delay_alu instid0(VALU_DEP_3) | instskip(SKIP_3) | instid1(VALU_DEP_4)
	v_lshlrev_b64 v[17:18], 3, v[10:11]
	v_add_co_u32 v15, vcc_lo, s10, v15
	v_add_co_ci_u32_e32 v16, vcc_lo, s11, v16, vcc_lo
	v_add_co_u32 v12, vcc_lo, s6, v12
	v_add_co_u32 v17, s0, s14, v17
	global_load_b64 v[15:16], v[15:16], off
	v_add_co_ci_u32_e64 v18, s0, s15, v18, s0
	v_add_co_ci_u32_e32 v13, vcc_lo, s7, v13, vcc_lo
	v_lshlrev_b64 v[21:22], 4, v[10:11]
	s_waitcnt vmcnt(0)
	v_add_co_u32 v15, s0, s1, v15
	s_delay_alu instid0(VALU_DEP_1)
	v_add_co_ci_u32_e64 v16, s0, s18, v16, s0
	global_store_b64 v[17:18], v[15:16], off
	global_load_b128 v[15:18], v[12:13], off
	v_add_co_u32 v13, vcc_lo, v0, s8
	v_add_co_ci_u32_e32 v20, vcc_lo, s9, v3, vcc_lo
	v_add_nc_u32_e32 v12, 1, v9
	s_delay_alu instid0(VALU_DEP_3) | instskip(NEXT) | instid1(VALU_DEP_3)
	v_add_co_u32 v19, vcc_lo, v13, -1
	v_add_co_ci_u32_e32 v20, vcc_lo, -1, v20, vcc_lo
	s_delay_alu instid0(VALU_DEP_3) | instskip(SKIP_1) | instid1(VALU_DEP_3)
	v_ashrrev_i32_e32 v13, 31, v12
	v_dual_mov_b32 v9, v12 :: v_dual_add_nc_u32 v10, s4, v10
	v_cmp_le_i64_e32 vcc_lo, v[1:2], v[19:20]
	v_add_co_u32 v19, s0, s2, v21
	s_delay_alu instid0(VALU_DEP_1) | instskip(SKIP_4) | instid1(SALU_CYCLE_1)
	v_add_co_ci_u32_e64 v20, s0, s3, v22, s0
	s_or_b32 s0, vcc_lo, s19
	s_add_u32 s8, s8, 1
	s_addc_u32 s9, s9, 0
	s_and_b32 s0, exec_lo, s0
	s_or_b32 s16, s0, s16
	s_waitcnt vmcnt(0)
	global_store_b128 v[19:20], v[15:18], off
	s_and_not1_b32 exec_lo, exec_lo, s16
	s_cbranch_execnz .LBB19_3
.LBB19_4:
	s_or_b32 exec_lo, exec_lo, s17
	v_sub_co_u32 v8, vcc_lo, v1, v8
	v_sub_co_ci_u32_e32 v9, vcc_lo, v2, v14, vcc_lo
	s_delay_alu instid0(VALU_DEP_1)
	v_cmp_gt_i64_e32 vcc_lo, s[12:13], v[8:9]
	s_and_b32 exec_lo, exec_lo, vcc_lo
	s_cbranch_execz .LBB19_7
; %bb.5:
	v_mul_lo_u32 v0, s5, v8
	v_mul_lo_u32 v3, s4, v9
	v_mad_u64_u32 v[1:2], null, s4, v8, 0
	v_lshlrev_b64 v[10:11], 4, v[6:7]
	s_mov_b32 s1, 0
	s_delay_alu instid0(VALU_DEP_2) | instskip(SKIP_2) | instid1(VALU_DEP_3)
	v_add3_u32 v2, v2, v3, v0
	v_mov_b32_e32 v0, 0
	v_mov_b32_e32 v6, -1
	v_lshlrev_b64 v[12:13], 4, v[1:2]
	v_lshlrev_b64 v[1:2], 3, v[1:2]
	s_delay_alu instid0(VALU_DEP_2) | instskip(NEXT) | instid1(VALU_DEP_3)
	v_add_co_u32 v3, vcc_lo, v12, v10
	v_add_co_ci_u32_e32 v7, vcc_lo, v13, v11, vcc_lo
	s_delay_alu instid0(VALU_DEP_3) | instskip(NEXT) | instid1(VALU_DEP_4)
	v_add_co_u32 v1, vcc_lo, v1, v4
	v_add_co_ci_u32_e32 v2, vcc_lo, v2, v5, vcc_lo
	s_delay_alu instid0(VALU_DEP_4) | instskip(NEXT) | instid1(VALU_DEP_4)
	v_add_co_u32 v3, vcc_lo, v3, s2
	v_add_co_ci_u32_e32 v7, vcc_lo, s3, v7, vcc_lo
	s_delay_alu instid0(VALU_DEP_4)
	v_add_co_u32 v4, vcc_lo, s14, v1
	v_mov_b32_e32 v1, v0
	v_add_co_ci_u32_e32 v5, vcc_lo, s15, v2, vcc_lo
	v_add_co_u32 v10, vcc_lo, v3, 8
	v_add_co_ci_u32_e32 v11, vcc_lo, 0, v7, vcc_lo
	v_dual_mov_b32 v7, v6 :: v_dual_mov_b32 v2, v0
	v_mov_b32_e32 v3, v0
	s_lshl_b64 s[2:3], s[4:5], 3
	s_lshl_b64 s[4:5], s[4:5], 4
	.p2align	6
.LBB19_6:                               ; =>This Inner Loop Header: Depth=1
	v_add_co_u32 v8, vcc_lo, v8, 1
	v_add_co_ci_u32_e32 v9, vcc_lo, 0, v9, vcc_lo
	global_store_b64 v[4:5], v[6:7], off
	global_store_b128 v[10:11], v[0:3], off offset:-8
	v_add_co_u32 v4, vcc_lo, v4, s2
	v_add_co_ci_u32_e32 v5, vcc_lo, s3, v5, vcc_lo
	v_cmp_le_i64_e32 vcc_lo, s[12:13], v[8:9]
	v_add_co_u32 v10, s0, v10, s4
	s_delay_alu instid0(VALU_DEP_1) | instskip(SKIP_1) | instid1(SALU_CYCLE_1)
	v_add_co_ci_u32_e64 v11, s0, s5, v11, s0
	s_or_b32 s1, vcc_lo, s1
	s_and_not1_b32 exec_lo, exec_lo, s1
	s_cbranch_execnz .LBB19_6
.LBB19_7:
	s_nop 0
	s_sendmsg sendmsg(MSG_DEALLOC_VGPRS)
	s_endpgm
	.section	.rodata,"a",@progbits
	.p2align	6, 0x0
	.amdhsa_kernel _ZN9rocsparseL14csr2ell_kernelILj512E21rocsparse_complex_numIdEllEEvT2_PKT0_PKT1_PKS3_21rocsparse_index_base_S3_PS3_PS4_SC_
		.amdhsa_group_segment_fixed_size 0
		.amdhsa_private_segment_fixed_size 0
		.amdhsa_kernarg_size 68
		.amdhsa_user_sgpr_count 15
		.amdhsa_user_sgpr_dispatch_ptr 0
		.amdhsa_user_sgpr_queue_ptr 0
		.amdhsa_user_sgpr_kernarg_segment_ptr 1
		.amdhsa_user_sgpr_dispatch_id 0
		.amdhsa_user_sgpr_private_segment_size 0
		.amdhsa_wavefront_size32 1
		.amdhsa_uses_dynamic_stack 0
		.amdhsa_enable_private_segment 0
		.amdhsa_system_sgpr_workgroup_id_x 1
		.amdhsa_system_sgpr_workgroup_id_y 0
		.amdhsa_system_sgpr_workgroup_id_z 0
		.amdhsa_system_sgpr_workgroup_info 0
		.amdhsa_system_vgpr_workitem_id 0
		.amdhsa_next_free_vgpr 23
		.amdhsa_next_free_sgpr 20
		.amdhsa_reserve_vcc 1
		.amdhsa_float_round_mode_32 0
		.amdhsa_float_round_mode_16_64 0
		.amdhsa_float_denorm_mode_32 3
		.amdhsa_float_denorm_mode_16_64 3
		.amdhsa_dx10_clamp 1
		.amdhsa_ieee_mode 1
		.amdhsa_fp16_overflow 0
		.amdhsa_workgroup_processor_mode 1
		.amdhsa_memory_ordered 1
		.amdhsa_forward_progress 0
		.amdhsa_shared_vgpr_count 0
		.amdhsa_exception_fp_ieee_invalid_op 0
		.amdhsa_exception_fp_denorm_src 0
		.amdhsa_exception_fp_ieee_div_zero 0
		.amdhsa_exception_fp_ieee_overflow 0
		.amdhsa_exception_fp_ieee_underflow 0
		.amdhsa_exception_fp_ieee_inexact 0
		.amdhsa_exception_int_div_zero 0
	.end_amdhsa_kernel
	.section	.text._ZN9rocsparseL14csr2ell_kernelILj512E21rocsparse_complex_numIdEllEEvT2_PKT0_PKT1_PKS3_21rocsparse_index_base_S3_PS3_PS4_SC_,"axG",@progbits,_ZN9rocsparseL14csr2ell_kernelILj512E21rocsparse_complex_numIdEllEEvT2_PKT0_PKT1_PKS3_21rocsparse_index_base_S3_PS3_PS4_SC_,comdat
.Lfunc_end19:
	.size	_ZN9rocsparseL14csr2ell_kernelILj512E21rocsparse_complex_numIdEllEEvT2_PKT0_PKT1_PKS3_21rocsparse_index_base_S3_PS3_PS4_SC_, .Lfunc_end19-_ZN9rocsparseL14csr2ell_kernelILj512E21rocsparse_complex_numIdEllEEvT2_PKT0_PKT1_PKS3_21rocsparse_index_base_S3_PS3_PS4_SC_
                                        ; -- End function
	.section	.AMDGPU.csdata,"",@progbits
; Kernel info:
; codeLenInByte = 772
; NumSgprs: 22
; NumVgprs: 23
; ScratchSize: 0
; MemoryBound: 0
; FloatMode: 240
; IeeeMode: 1
; LDSByteSize: 0 bytes/workgroup (compile time only)
; SGPRBlocks: 2
; VGPRBlocks: 2
; NumSGPRsForWavesPerEU: 22
; NumVGPRsForWavesPerEU: 23
; Occupancy: 16
; WaveLimiterHint : 0
; COMPUTE_PGM_RSRC2:SCRATCH_EN: 0
; COMPUTE_PGM_RSRC2:USER_SGPR: 15
; COMPUTE_PGM_RSRC2:TRAP_HANDLER: 0
; COMPUTE_PGM_RSRC2:TGID_X_EN: 1
; COMPUTE_PGM_RSRC2:TGID_Y_EN: 0
; COMPUTE_PGM_RSRC2:TGID_Z_EN: 0
; COMPUTE_PGM_RSRC2:TIDIG_COMP_CNT: 0
	.text
	.p2alignl 7, 3214868480
	.fill 96, 4, 3214868480
	.type	__hip_cuid_821216eea9237830,@object ; @__hip_cuid_821216eea9237830
	.section	.bss,"aw",@nobits
	.globl	__hip_cuid_821216eea9237830
__hip_cuid_821216eea9237830:
	.byte	0                               ; 0x0
	.size	__hip_cuid_821216eea9237830, 1

	.ident	"AMD clang version 19.0.0git (https://github.com/RadeonOpenCompute/llvm-project roc-6.4.0 25133 c7fe45cf4b819c5991fe208aaa96edf142730f1d)"
	.section	".note.GNU-stack","",@progbits
	.addrsig
	.addrsig_sym __hip_cuid_821216eea9237830
	.amdgpu_metadata
---
amdhsa.kernels:
  - .args:
      - .offset:         0
        .size:           4
        .value_kind:     by_value
      - .address_space:  global
        .offset:         8
        .size:           8
        .value_kind:     global_buffer
      - .address_space:  global
        .offset:         16
        .size:           8
        .value_kind:     global_buffer
      - .address_space:  global
        .offset:         24
        .size:           8
        .value_kind:     global_buffer
      - .offset:         32
        .size:           4
        .value_kind:     by_value
      - .offset:         36
        .size:           4
        .value_kind:     by_value
      - .address_space:  global
        .offset:         40
        .size:           8
        .value_kind:     global_buffer
      - .address_space:  global
        .offset:         48
        .size:           8
        .value_kind:     global_buffer
      - .offset:         56
        .size:           4
        .value_kind:     by_value
    .group_segment_fixed_size: 0
    .kernarg_segment_align: 8
    .kernarg_segment_size: 60
    .language:       OpenCL C
    .language_version:
      - 2
      - 0
    .max_flat_workgroup_size: 512
    .name:           _ZN9rocsparseL14csr2ell_kernelILj512EiiiEEvT2_PKT0_PKT1_PKS1_21rocsparse_index_base_S1_PS1_PS2_SA_
    .private_segment_fixed_size: 0
    .sgpr_count:     18
    .sgpr_spill_count: 0
    .symbol:         _ZN9rocsparseL14csr2ell_kernelILj512EiiiEEvT2_PKT0_PKT1_PKS1_21rocsparse_index_base_S1_PS1_PS2_SA_.kd
    .uniform_work_group_size: 1
    .uses_dynamic_stack: false
    .vgpr_count:     14
    .vgpr_spill_count: 0
    .wavefront_size: 32
    .workgroup_processor_mode: 1
  - .args:
      - .offset:         0
        .size:           4
        .value_kind:     by_value
      - .address_space:  global
        .offset:         8
        .size:           8
        .value_kind:     global_buffer
      - .address_space:  global
        .offset:         16
        .size:           8
        .value_kind:     global_buffer
      - .address_space:  global
        .offset:         24
        .size:           8
        .value_kind:     global_buffer
      - .offset:         32
        .size:           4
        .value_kind:     by_value
      - .offset:         36
        .size:           4
        .value_kind:     by_value
      - .address_space:  global
        .offset:         40
        .size:           8
        .value_kind:     global_buffer
      - .address_space:  global
        .offset:         48
        .size:           8
        .value_kind:     global_buffer
      - .offset:         56
        .size:           4
        .value_kind:     by_value
    .group_segment_fixed_size: 0
    .kernarg_segment_align: 8
    .kernarg_segment_size: 60
    .language:       OpenCL C
    .language_version:
      - 2
      - 0
    .max_flat_workgroup_size: 512
    .name:           _ZN9rocsparseL14csr2ell_kernelILj512EiliEEvT2_PKT0_PKT1_PKS1_21rocsparse_index_base_S1_PS1_PS2_SA_
    .private_segment_fixed_size: 0
    .sgpr_count:     22
    .sgpr_spill_count: 0
    .symbol:         _ZN9rocsparseL14csr2ell_kernelILj512EiliEEvT2_PKT0_PKT1_PKS1_21rocsparse_index_base_S1_PS1_PS2_SA_.kd
    .uniform_work_group_size: 1
    .uses_dynamic_stack: false
    .vgpr_count:     16
    .vgpr_spill_count: 0
    .wavefront_size: 32
    .workgroup_processor_mode: 1
  - .args:
      - .offset:         0
        .size:           8
        .value_kind:     by_value
      - .address_space:  global
        .offset:         8
        .size:           8
        .value_kind:     global_buffer
      - .address_space:  global
        .offset:         16
        .size:           8
        .value_kind:     global_buffer
      - .address_space:  global
        .offset:         24
        .size:           8
        .value_kind:     global_buffer
      - .offset:         32
        .size:           4
        .value_kind:     by_value
      - .offset:         40
        .size:           8
        .value_kind:     by_value
      - .address_space:  global
        .offset:         48
        .size:           8
        .value_kind:     global_buffer
      - .address_space:  global
        .offset:         56
        .size:           8
        .value_kind:     global_buffer
      - .offset:         64
        .size:           4
        .value_kind:     by_value
    .group_segment_fixed_size: 0
    .kernarg_segment_align: 8
    .kernarg_segment_size: 68
    .language:       OpenCL C
    .language_version:
      - 2
      - 0
    .max_flat_workgroup_size: 512
    .name:           _ZN9rocsparseL14csr2ell_kernelILj512EiilEEvT2_PKT0_PKT1_PKS1_21rocsparse_index_base_S1_PS1_PS2_SA_
    .private_segment_fixed_size: 0
    .sgpr_count:     19
    .sgpr_spill_count: 0
    .symbol:         _ZN9rocsparseL14csr2ell_kernelILj512EiilEEvT2_PKT0_PKT1_PKS1_21rocsparse_index_base_S1_PS1_PS2_SA_.kd
    .uniform_work_group_size: 1
    .uses_dynamic_stack: false
    .vgpr_count:     16
    .vgpr_spill_count: 0
    .wavefront_size: 32
    .workgroup_processor_mode: 1
  - .args:
      - .offset:         0
        .size:           8
        .value_kind:     by_value
      - .address_space:  global
        .offset:         8
        .size:           8
        .value_kind:     global_buffer
      - .address_space:  global
        .offset:         16
        .size:           8
        .value_kind:     global_buffer
      - .address_space:  global
        .offset:         24
        .size:           8
        .value_kind:     global_buffer
      - .offset:         32
        .size:           4
        .value_kind:     by_value
      - .offset:         40
        .size:           8
        .value_kind:     by_value
      - .address_space:  global
        .offset:         48
        .size:           8
        .value_kind:     global_buffer
      - .address_space:  global
        .offset:         56
        .size:           8
        .value_kind:     global_buffer
      - .offset:         64
        .size:           4
        .value_kind:     by_value
    .group_segment_fixed_size: 0
    .kernarg_segment_align: 8
    .kernarg_segment_size: 68
    .language:       OpenCL C
    .language_version:
      - 2
      - 0
    .max_flat_workgroup_size: 512
    .name:           _ZN9rocsparseL14csr2ell_kernelILj512EillEEvT2_PKT0_PKT1_PKS1_21rocsparse_index_base_S1_PS1_PS2_SA_
    .private_segment_fixed_size: 0
    .sgpr_count:     22
    .sgpr_spill_count: 0
    .symbol:         _ZN9rocsparseL14csr2ell_kernelILj512EillEEvT2_PKT0_PKT1_PKS1_21rocsparse_index_base_S1_PS1_PS2_SA_.kd
    .uniform_work_group_size: 1
    .uses_dynamic_stack: false
    .vgpr_count:     24
    .vgpr_spill_count: 0
    .wavefront_size: 32
    .workgroup_processor_mode: 1
  - .args:
      - .offset:         0
        .size:           4
        .value_kind:     by_value
      - .address_space:  global
        .offset:         8
        .size:           8
        .value_kind:     global_buffer
      - .address_space:  global
        .offset:         16
        .size:           8
        .value_kind:     global_buffer
      - .address_space:  global
        .offset:         24
        .size:           8
        .value_kind:     global_buffer
      - .offset:         32
        .size:           4
        .value_kind:     by_value
      - .offset:         36
        .size:           4
        .value_kind:     by_value
      - .address_space:  global
        .offset:         40
        .size:           8
        .value_kind:     global_buffer
      - .address_space:  global
        .offset:         48
        .size:           8
        .value_kind:     global_buffer
      - .offset:         56
        .size:           4
        .value_kind:     by_value
    .group_segment_fixed_size: 0
    .kernarg_segment_align: 8
    .kernarg_segment_size: 60
    .language:       OpenCL C
    .language_version:
      - 2
      - 0
    .max_flat_workgroup_size: 512
    .name:           _ZN9rocsparseL14csr2ell_kernelILj512EfiiEEvT2_PKT0_PKT1_PKS1_21rocsparse_index_base_S1_PS1_PS2_SA_
    .private_segment_fixed_size: 0
    .sgpr_count:     18
    .sgpr_spill_count: 0
    .symbol:         _ZN9rocsparseL14csr2ell_kernelILj512EfiiEEvT2_PKT0_PKT1_PKS1_21rocsparse_index_base_S1_PS1_PS2_SA_.kd
    .uniform_work_group_size: 1
    .uses_dynamic_stack: false
    .vgpr_count:     15
    .vgpr_spill_count: 0
    .wavefront_size: 32
    .workgroup_processor_mode: 1
  - .args:
      - .offset:         0
        .size:           4
        .value_kind:     by_value
      - .address_space:  global
        .offset:         8
        .size:           8
        .value_kind:     global_buffer
      - .address_space:  global
        .offset:         16
        .size:           8
        .value_kind:     global_buffer
      - .address_space:  global
        .offset:         24
        .size:           8
        .value_kind:     global_buffer
      - .offset:         32
        .size:           4
        .value_kind:     by_value
      - .offset:         36
        .size:           4
        .value_kind:     by_value
      - .address_space:  global
        .offset:         40
        .size:           8
        .value_kind:     global_buffer
      - .address_space:  global
        .offset:         48
        .size:           8
        .value_kind:     global_buffer
      - .offset:         56
        .size:           4
        .value_kind:     by_value
    .group_segment_fixed_size: 0
    .kernarg_segment_align: 8
    .kernarg_segment_size: 60
    .language:       OpenCL C
    .language_version:
      - 2
      - 0
    .max_flat_workgroup_size: 512
    .name:           _ZN9rocsparseL14csr2ell_kernelILj512EfliEEvT2_PKT0_PKT1_PKS1_21rocsparse_index_base_S1_PS1_PS2_SA_
    .private_segment_fixed_size: 0
    .sgpr_count:     21
    .sgpr_spill_count: 0
    .symbol:         _ZN9rocsparseL14csr2ell_kernelILj512EfliEEvT2_PKT0_PKT1_PKS1_21rocsparse_index_base_S1_PS1_PS2_SA_.kd
    .uniform_work_group_size: 1
    .uses_dynamic_stack: false
    .vgpr_count:     18
    .vgpr_spill_count: 0
    .wavefront_size: 32
    .workgroup_processor_mode: 1
  - .args:
      - .offset:         0
        .size:           8
        .value_kind:     by_value
      - .address_space:  global
        .offset:         8
        .size:           8
        .value_kind:     global_buffer
      - .address_space:  global
        .offset:         16
        .size:           8
        .value_kind:     global_buffer
      - .address_space:  global
        .offset:         24
        .size:           8
        .value_kind:     global_buffer
      - .offset:         32
        .size:           4
        .value_kind:     by_value
      - .offset:         40
        .size:           8
        .value_kind:     by_value
      - .address_space:  global
        .offset:         48
        .size:           8
        .value_kind:     global_buffer
      - .address_space:  global
        .offset:         56
        .size:           8
        .value_kind:     global_buffer
      - .offset:         64
        .size:           4
        .value_kind:     by_value
    .group_segment_fixed_size: 0
    .kernarg_segment_align: 8
    .kernarg_segment_size: 68
    .language:       OpenCL C
    .language_version:
      - 2
      - 0
    .max_flat_workgroup_size: 512
    .name:           _ZN9rocsparseL14csr2ell_kernelILj512EfilEEvT2_PKT0_PKT1_PKS1_21rocsparse_index_base_S1_PS1_PS2_SA_
    .private_segment_fixed_size: 0
    .sgpr_count:     19
    .sgpr_spill_count: 0
    .symbol:         _ZN9rocsparseL14csr2ell_kernelILj512EfilEEvT2_PKT0_PKT1_PKS1_21rocsparse_index_base_S1_PS1_PS2_SA_.kd
    .uniform_work_group_size: 1
    .uses_dynamic_stack: false
    .vgpr_count:     16
    .vgpr_spill_count: 0
    .wavefront_size: 32
    .workgroup_processor_mode: 1
  - .args:
      - .offset:         0
        .size:           8
        .value_kind:     by_value
      - .address_space:  global
        .offset:         8
        .size:           8
        .value_kind:     global_buffer
      - .address_space:  global
        .offset:         16
        .size:           8
        .value_kind:     global_buffer
      - .address_space:  global
        .offset:         24
        .size:           8
        .value_kind:     global_buffer
      - .offset:         32
        .size:           4
        .value_kind:     by_value
      - .offset:         40
        .size:           8
        .value_kind:     by_value
      - .address_space:  global
        .offset:         48
        .size:           8
        .value_kind:     global_buffer
      - .address_space:  global
        .offset:         56
        .size:           8
        .value_kind:     global_buffer
      - .offset:         64
        .size:           4
        .value_kind:     by_value
    .group_segment_fixed_size: 0
    .kernarg_segment_align: 8
    .kernarg_segment_size: 68
    .language:       OpenCL C
    .language_version:
      - 2
      - 0
    .max_flat_workgroup_size: 512
    .name:           _ZN9rocsparseL14csr2ell_kernelILj512EfllEEvT2_PKT0_PKT1_PKS1_21rocsparse_index_base_S1_PS1_PS2_SA_
    .private_segment_fixed_size: 0
    .sgpr_count:     22
    .sgpr_spill_count: 0
    .symbol:         _ZN9rocsparseL14csr2ell_kernelILj512EfllEEvT2_PKT0_PKT1_PKS1_21rocsparse_index_base_S1_PS1_PS2_SA_.kd
    .uniform_work_group_size: 1
    .uses_dynamic_stack: false
    .vgpr_count:     24
    .vgpr_spill_count: 0
    .wavefront_size: 32
    .workgroup_processor_mode: 1
  - .args:
      - .offset:         0
        .size:           4
        .value_kind:     by_value
      - .address_space:  global
        .offset:         8
        .size:           8
        .value_kind:     global_buffer
      - .address_space:  global
        .offset:         16
        .size:           8
        .value_kind:     global_buffer
      - .address_space:  global
        .offset:         24
        .size:           8
        .value_kind:     global_buffer
      - .offset:         32
        .size:           4
        .value_kind:     by_value
      - .offset:         36
        .size:           4
        .value_kind:     by_value
      - .address_space:  global
        .offset:         40
        .size:           8
        .value_kind:     global_buffer
      - .address_space:  global
        .offset:         48
        .size:           8
        .value_kind:     global_buffer
      - .offset:         56
        .size:           4
        .value_kind:     by_value
    .group_segment_fixed_size: 0
    .kernarg_segment_align: 8
    .kernarg_segment_size: 60
    .language:       OpenCL C
    .language_version:
      - 2
      - 0
    .max_flat_workgroup_size: 512
    .name:           _ZN9rocsparseL14csr2ell_kernelILj512EdiiEEvT2_PKT0_PKT1_PKS1_21rocsparse_index_base_S1_PS1_PS2_SA_
    .private_segment_fixed_size: 0
    .sgpr_count:     18
    .sgpr_spill_count: 0
    .symbol:         _ZN9rocsparseL14csr2ell_kernelILj512EdiiEEvT2_PKT0_PKT1_PKS1_21rocsparse_index_base_S1_PS1_PS2_SA_.kd
    .uniform_work_group_size: 1
    .uses_dynamic_stack: false
    .vgpr_count:     16
    .vgpr_spill_count: 0
    .wavefront_size: 32
    .workgroup_processor_mode: 1
  - .args:
      - .offset:         0
        .size:           4
        .value_kind:     by_value
      - .address_space:  global
        .offset:         8
        .size:           8
        .value_kind:     global_buffer
      - .address_space:  global
        .offset:         16
        .size:           8
        .value_kind:     global_buffer
      - .address_space:  global
        .offset:         24
        .size:           8
        .value_kind:     global_buffer
      - .offset:         32
        .size:           4
        .value_kind:     by_value
      - .offset:         36
        .size:           4
        .value_kind:     by_value
      - .address_space:  global
        .offset:         40
        .size:           8
        .value_kind:     global_buffer
      - .address_space:  global
        .offset:         48
        .size:           8
        .value_kind:     global_buffer
      - .offset:         56
        .size:           4
        .value_kind:     by_value
    .group_segment_fixed_size: 0
    .kernarg_segment_align: 8
    .kernarg_segment_size: 60
    .language:       OpenCL C
    .language_version:
      - 2
      - 0
    .max_flat_workgroup_size: 512
    .name:           _ZN9rocsparseL14csr2ell_kernelILj512EdliEEvT2_PKT0_PKT1_PKS1_21rocsparse_index_base_S1_PS1_PS2_SA_
    .private_segment_fixed_size: 0
    .sgpr_count:     21
    .sgpr_spill_count: 0
    .symbol:         _ZN9rocsparseL14csr2ell_kernelILj512EdliEEvT2_PKT0_PKT1_PKS1_21rocsparse_index_base_S1_PS1_PS2_SA_.kd
    .uniform_work_group_size: 1
    .uses_dynamic_stack: false
    .vgpr_count:     20
    .vgpr_spill_count: 0
    .wavefront_size: 32
    .workgroup_processor_mode: 1
  - .args:
      - .offset:         0
        .size:           8
        .value_kind:     by_value
      - .address_space:  global
        .offset:         8
        .size:           8
        .value_kind:     global_buffer
      - .address_space:  global
        .offset:         16
        .size:           8
        .value_kind:     global_buffer
      - .address_space:  global
        .offset:         24
        .size:           8
        .value_kind:     global_buffer
      - .offset:         32
        .size:           4
        .value_kind:     by_value
      - .offset:         40
        .size:           8
        .value_kind:     by_value
      - .address_space:  global
        .offset:         48
        .size:           8
        .value_kind:     global_buffer
      - .address_space:  global
        .offset:         56
        .size:           8
        .value_kind:     global_buffer
      - .offset:         64
        .size:           4
        .value_kind:     by_value
    .group_segment_fixed_size: 0
    .kernarg_segment_align: 8
    .kernarg_segment_size: 68
    .language:       OpenCL C
    .language_version:
      - 2
      - 0
    .max_flat_workgroup_size: 512
    .name:           _ZN9rocsparseL14csr2ell_kernelILj512EdilEEvT2_PKT0_PKT1_PKS1_21rocsparse_index_base_S1_PS1_PS2_SA_
    .private_segment_fixed_size: 0
    .sgpr_count:     19
    .sgpr_spill_count: 0
    .symbol:         _ZN9rocsparseL14csr2ell_kernelILj512EdilEEvT2_PKT0_PKT1_PKS1_21rocsparse_index_base_S1_PS1_PS2_SA_.kd
    .uniform_work_group_size: 1
    .uses_dynamic_stack: false
    .vgpr_count:     17
    .vgpr_spill_count: 0
    .wavefront_size: 32
    .workgroup_processor_mode: 1
  - .args:
      - .offset:         0
        .size:           8
        .value_kind:     by_value
      - .address_space:  global
        .offset:         8
        .size:           8
        .value_kind:     global_buffer
      - .address_space:  global
        .offset:         16
        .size:           8
        .value_kind:     global_buffer
      - .address_space:  global
        .offset:         24
        .size:           8
        .value_kind:     global_buffer
      - .offset:         32
        .size:           4
        .value_kind:     by_value
      - .offset:         40
        .size:           8
        .value_kind:     by_value
      - .address_space:  global
        .offset:         48
        .size:           8
        .value_kind:     global_buffer
      - .address_space:  global
        .offset:         56
        .size:           8
        .value_kind:     global_buffer
      - .offset:         64
        .size:           4
        .value_kind:     by_value
    .group_segment_fixed_size: 0
    .kernarg_segment_align: 8
    .kernarg_segment_size: 68
    .language:       OpenCL C
    .language_version:
      - 2
      - 0
    .max_flat_workgroup_size: 512
    .name:           _ZN9rocsparseL14csr2ell_kernelILj512EdllEEvT2_PKT0_PKT1_PKS1_21rocsparse_index_base_S1_PS1_PS2_SA_
    .private_segment_fixed_size: 0
    .sgpr_count:     22
    .sgpr_spill_count: 0
    .symbol:         _ZN9rocsparseL14csr2ell_kernelILj512EdllEEvT2_PKT0_PKT1_PKS1_21rocsparse_index_base_S1_PS1_PS2_SA_.kd
    .uniform_work_group_size: 1
    .uses_dynamic_stack: false
    .vgpr_count:     21
    .vgpr_spill_count: 0
    .wavefront_size: 32
    .workgroup_processor_mode: 1
  - .args:
      - .offset:         0
        .size:           4
        .value_kind:     by_value
      - .address_space:  global
        .offset:         8
        .size:           8
        .value_kind:     global_buffer
      - .address_space:  global
        .offset:         16
        .size:           8
        .value_kind:     global_buffer
      - .address_space:  global
        .offset:         24
        .size:           8
        .value_kind:     global_buffer
      - .offset:         32
        .size:           4
        .value_kind:     by_value
      - .offset:         36
        .size:           4
        .value_kind:     by_value
      - .address_space:  global
        .offset:         40
        .size:           8
        .value_kind:     global_buffer
      - .address_space:  global
        .offset:         48
        .size:           8
        .value_kind:     global_buffer
      - .offset:         56
        .size:           4
        .value_kind:     by_value
    .group_segment_fixed_size: 0
    .kernarg_segment_align: 8
    .kernarg_segment_size: 60
    .language:       OpenCL C
    .language_version:
      - 2
      - 0
    .max_flat_workgroup_size: 512
    .name:           _ZN9rocsparseL14csr2ell_kernelILj512E21rocsparse_complex_numIfEiiEEvT2_PKT0_PKT1_PKS3_21rocsparse_index_base_S3_PS3_PS4_SC_
    .private_segment_fixed_size: 0
    .sgpr_count:     18
    .sgpr_spill_count: 0
    .symbol:         _ZN9rocsparseL14csr2ell_kernelILj512E21rocsparse_complex_numIfEiiEEvT2_PKT0_PKT1_PKS3_21rocsparse_index_base_S3_PS3_PS4_SC_.kd
    .uniform_work_group_size: 1
    .uses_dynamic_stack: false
    .vgpr_count:     13
    .vgpr_spill_count: 0
    .wavefront_size: 32
    .workgroup_processor_mode: 1
  - .args:
      - .offset:         0
        .size:           4
        .value_kind:     by_value
      - .address_space:  global
        .offset:         8
        .size:           8
        .value_kind:     global_buffer
      - .address_space:  global
        .offset:         16
        .size:           8
        .value_kind:     global_buffer
      - .address_space:  global
        .offset:         24
        .size:           8
        .value_kind:     global_buffer
      - .offset:         32
        .size:           4
        .value_kind:     by_value
      - .offset:         36
        .size:           4
        .value_kind:     by_value
      - .address_space:  global
        .offset:         40
        .size:           8
        .value_kind:     global_buffer
      - .address_space:  global
        .offset:         48
        .size:           8
        .value_kind:     global_buffer
      - .offset:         56
        .size:           4
        .value_kind:     by_value
    .group_segment_fixed_size: 0
    .kernarg_segment_align: 8
    .kernarg_segment_size: 60
    .language:       OpenCL C
    .language_version:
      - 2
      - 0
    .max_flat_workgroup_size: 512
    .name:           _ZN9rocsparseL14csr2ell_kernelILj512E21rocsparse_complex_numIfEliEEvT2_PKT0_PKT1_PKS3_21rocsparse_index_base_S3_PS3_PS4_SC_
    .private_segment_fixed_size: 0
    .sgpr_count:     22
    .sgpr_spill_count: 0
    .symbol:         _ZN9rocsparseL14csr2ell_kernelILj512E21rocsparse_complex_numIfEliEEvT2_PKT0_PKT1_PKS3_21rocsparse_index_base_S3_PS3_PS4_SC_.kd
    .uniform_work_group_size: 1
    .uses_dynamic_stack: false
    .vgpr_count:     15
    .vgpr_spill_count: 0
    .wavefront_size: 32
    .workgroup_processor_mode: 1
  - .args:
      - .offset:         0
        .size:           8
        .value_kind:     by_value
      - .address_space:  global
        .offset:         8
        .size:           8
        .value_kind:     global_buffer
      - .address_space:  global
        .offset:         16
        .size:           8
        .value_kind:     global_buffer
      - .address_space:  global
        .offset:         24
        .size:           8
        .value_kind:     global_buffer
      - .offset:         32
        .size:           4
        .value_kind:     by_value
      - .offset:         40
        .size:           8
        .value_kind:     by_value
      - .address_space:  global
        .offset:         48
        .size:           8
        .value_kind:     global_buffer
      - .address_space:  global
        .offset:         56
        .size:           8
        .value_kind:     global_buffer
      - .offset:         64
        .size:           4
        .value_kind:     by_value
    .group_segment_fixed_size: 0
    .kernarg_segment_align: 8
    .kernarg_segment_size: 68
    .language:       OpenCL C
    .language_version:
      - 2
      - 0
    .max_flat_workgroup_size: 512
    .name:           _ZN9rocsparseL14csr2ell_kernelILj512E21rocsparse_complex_numIfEilEEvT2_PKT0_PKT1_PKS3_21rocsparse_index_base_S3_PS3_PS4_SC_
    .private_segment_fixed_size: 0
    .sgpr_count:     19
    .sgpr_spill_count: 0
    .symbol:         _ZN9rocsparseL14csr2ell_kernelILj512E21rocsparse_complex_numIfEilEEvT2_PKT0_PKT1_PKS3_21rocsparse_index_base_S3_PS3_PS4_SC_.kd
    .uniform_work_group_size: 1
    .uses_dynamic_stack: false
    .vgpr_count:     15
    .vgpr_spill_count: 0
    .wavefront_size: 32
    .workgroup_processor_mode: 1
  - .args:
      - .offset:         0
        .size:           8
        .value_kind:     by_value
      - .address_space:  global
        .offset:         8
        .size:           8
        .value_kind:     global_buffer
      - .address_space:  global
        .offset:         16
        .size:           8
        .value_kind:     global_buffer
      - .address_space:  global
        .offset:         24
        .size:           8
        .value_kind:     global_buffer
      - .offset:         32
        .size:           4
        .value_kind:     by_value
      - .offset:         40
        .size:           8
        .value_kind:     by_value
      - .address_space:  global
        .offset:         48
        .size:           8
        .value_kind:     global_buffer
      - .address_space:  global
        .offset:         56
        .size:           8
        .value_kind:     global_buffer
      - .offset:         64
        .size:           4
        .value_kind:     by_value
    .group_segment_fixed_size: 0
    .kernarg_segment_align: 8
    .kernarg_segment_size: 68
    .language:       OpenCL C
    .language_version:
      - 2
      - 0
    .max_flat_workgroup_size: 512
    .name:           _ZN9rocsparseL14csr2ell_kernelILj512E21rocsparse_complex_numIfEllEEvT2_PKT0_PKT1_PKS3_21rocsparse_index_base_S3_PS3_PS4_SC_
    .private_segment_fixed_size: 0
    .sgpr_count:     22
    .sgpr_spill_count: 0
    .symbol:         _ZN9rocsparseL14csr2ell_kernelILj512E21rocsparse_complex_numIfEllEEvT2_PKT0_PKT1_PKS3_21rocsparse_index_base_S3_PS3_PS4_SC_.kd
    .uniform_work_group_size: 1
    .uses_dynamic_stack: false
    .vgpr_count:     19
    .vgpr_spill_count: 0
    .wavefront_size: 32
    .workgroup_processor_mode: 1
  - .args:
      - .offset:         0
        .size:           4
        .value_kind:     by_value
      - .address_space:  global
        .offset:         8
        .size:           8
        .value_kind:     global_buffer
      - .address_space:  global
        .offset:         16
        .size:           8
        .value_kind:     global_buffer
      - .address_space:  global
        .offset:         24
        .size:           8
        .value_kind:     global_buffer
      - .offset:         32
        .size:           4
        .value_kind:     by_value
      - .offset:         36
        .size:           4
        .value_kind:     by_value
      - .address_space:  global
        .offset:         40
        .size:           8
        .value_kind:     global_buffer
      - .address_space:  global
        .offset:         48
        .size:           8
        .value_kind:     global_buffer
      - .offset:         56
        .size:           4
        .value_kind:     by_value
    .group_segment_fixed_size: 0
    .kernarg_segment_align: 8
    .kernarg_segment_size: 60
    .language:       OpenCL C
    .language_version:
      - 2
      - 0
    .max_flat_workgroup_size: 512
    .name:           _ZN9rocsparseL14csr2ell_kernelILj512E21rocsparse_complex_numIdEiiEEvT2_PKT0_PKT1_PKS3_21rocsparse_index_base_S3_PS3_PS4_SC_
    .private_segment_fixed_size: 0
    .sgpr_count:     18
    .sgpr_spill_count: 0
    .symbol:         _ZN9rocsparseL14csr2ell_kernelILj512E21rocsparse_complex_numIdEiiEEvT2_PKT0_PKT1_PKS3_21rocsparse_index_base_S3_PS3_PS4_SC_.kd
    .uniform_work_group_size: 1
    .uses_dynamic_stack: false
    .vgpr_count:     15
    .vgpr_spill_count: 0
    .wavefront_size: 32
    .workgroup_processor_mode: 1
  - .args:
      - .offset:         0
        .size:           4
        .value_kind:     by_value
      - .address_space:  global
        .offset:         8
        .size:           8
        .value_kind:     global_buffer
      - .address_space:  global
        .offset:         16
        .size:           8
        .value_kind:     global_buffer
      - .address_space:  global
        .offset:         24
        .size:           8
        .value_kind:     global_buffer
      - .offset:         32
        .size:           4
        .value_kind:     by_value
      - .offset:         36
        .size:           4
        .value_kind:     by_value
      - .address_space:  global
        .offset:         40
        .size:           8
        .value_kind:     global_buffer
      - .address_space:  global
        .offset:         48
        .size:           8
        .value_kind:     global_buffer
      - .offset:         56
        .size:           4
        .value_kind:     by_value
    .group_segment_fixed_size: 0
    .kernarg_segment_align: 8
    .kernarg_segment_size: 60
    .language:       OpenCL C
    .language_version:
      - 2
      - 0
    .max_flat_workgroup_size: 512
    .name:           _ZN9rocsparseL14csr2ell_kernelILj512E21rocsparse_complex_numIdEliEEvT2_PKT0_PKT1_PKS3_21rocsparse_index_base_S3_PS3_PS4_SC_
    .private_segment_fixed_size: 0
    .sgpr_count:     22
    .sgpr_spill_count: 0
    .symbol:         _ZN9rocsparseL14csr2ell_kernelILj512E21rocsparse_complex_numIdEliEEvT2_PKT0_PKT1_PKS3_21rocsparse_index_base_S3_PS3_PS4_SC_.kd
    .uniform_work_group_size: 1
    .uses_dynamic_stack: false
    .vgpr_count:     17
    .vgpr_spill_count: 0
    .wavefront_size: 32
    .workgroup_processor_mode: 1
  - .args:
      - .offset:         0
        .size:           8
        .value_kind:     by_value
      - .address_space:  global
        .offset:         8
        .size:           8
        .value_kind:     global_buffer
      - .address_space:  global
        .offset:         16
        .size:           8
        .value_kind:     global_buffer
      - .address_space:  global
        .offset:         24
        .size:           8
        .value_kind:     global_buffer
      - .offset:         32
        .size:           4
        .value_kind:     by_value
      - .offset:         40
        .size:           8
        .value_kind:     by_value
      - .address_space:  global
        .offset:         48
        .size:           8
        .value_kind:     global_buffer
      - .address_space:  global
        .offset:         56
        .size:           8
        .value_kind:     global_buffer
      - .offset:         64
        .size:           4
        .value_kind:     by_value
    .group_segment_fixed_size: 0
    .kernarg_segment_align: 8
    .kernarg_segment_size: 68
    .language:       OpenCL C
    .language_version:
      - 2
      - 0
    .max_flat_workgroup_size: 512
    .name:           _ZN9rocsparseL14csr2ell_kernelILj512E21rocsparse_complex_numIdEilEEvT2_PKT0_PKT1_PKS3_21rocsparse_index_base_S3_PS3_PS4_SC_
    .private_segment_fixed_size: 0
    .sgpr_count:     19
    .sgpr_spill_count: 0
    .symbol:         _ZN9rocsparseL14csr2ell_kernelILj512E21rocsparse_complex_numIdEilEEvT2_PKT0_PKT1_PKS3_21rocsparse_index_base_S3_PS3_PS4_SC_.kd
    .uniform_work_group_size: 1
    .uses_dynamic_stack: false
    .vgpr_count:     15
    .vgpr_spill_count: 0
    .wavefront_size: 32
    .workgroup_processor_mode: 1
  - .args:
      - .offset:         0
        .size:           8
        .value_kind:     by_value
      - .address_space:  global
        .offset:         8
        .size:           8
        .value_kind:     global_buffer
      - .address_space:  global
        .offset:         16
        .size:           8
        .value_kind:     global_buffer
      - .address_space:  global
        .offset:         24
        .size:           8
        .value_kind:     global_buffer
      - .offset:         32
        .size:           4
        .value_kind:     by_value
      - .offset:         40
        .size:           8
        .value_kind:     by_value
      - .address_space:  global
        .offset:         48
        .size:           8
        .value_kind:     global_buffer
      - .address_space:  global
        .offset:         56
        .size:           8
        .value_kind:     global_buffer
      - .offset:         64
        .size:           4
        .value_kind:     by_value
    .group_segment_fixed_size: 0
    .kernarg_segment_align: 8
    .kernarg_segment_size: 68
    .language:       OpenCL C
    .language_version:
      - 2
      - 0
    .max_flat_workgroup_size: 512
    .name:           _ZN9rocsparseL14csr2ell_kernelILj512E21rocsparse_complex_numIdEllEEvT2_PKT0_PKT1_PKS3_21rocsparse_index_base_S3_PS3_PS4_SC_
    .private_segment_fixed_size: 0
    .sgpr_count:     22
    .sgpr_spill_count: 0
    .symbol:         _ZN9rocsparseL14csr2ell_kernelILj512E21rocsparse_complex_numIdEllEEvT2_PKT0_PKT1_PKS3_21rocsparse_index_base_S3_PS3_PS4_SC_.kd
    .uniform_work_group_size: 1
    .uses_dynamic_stack: false
    .vgpr_count:     23
    .vgpr_spill_count: 0
    .wavefront_size: 32
    .workgroup_processor_mode: 1
amdhsa.target:   amdgcn-amd-amdhsa--gfx1100
amdhsa.version:
  - 1
  - 2
...

	.end_amdgpu_metadata
